;; amdgpu-corpus repo=ROCm/rocFFT kind=compiled arch=gfx906 opt=O3
	.text
	.amdgcn_target "amdgcn-amd-amdhsa--gfx906"
	.amdhsa_code_object_version 6
	.protected	bluestein_single_back_len975_dim1_half_op_CI_CI ; -- Begin function bluestein_single_back_len975_dim1_half_op_CI_CI
	.globl	bluestein_single_back_len975_dim1_half_op_CI_CI
	.p2align	8
	.type	bluestein_single_back_len975_dim1_half_op_CI_CI,@function
bluestein_single_back_len975_dim1_half_op_CI_CI: ; @bluestein_single_back_len975_dim1_half_op_CI_CI
; %bb.0:
	v_mul_u32_u24_e32 v1, 0x691, v0
	s_load_dwordx4 s[0:3], s[4:5], 0x28
	v_lshrrev_b32_e32 v1, 16, v1
	v_mad_u64_u32 v[44:45], s[6:7], s6, 3, v[1:2]
	v_mov_b32_e32 v43, 0
	v_mov_b32_e32 v45, v43
	s_waitcnt lgkmcnt(0)
	v_cmp_gt_u64_e32 vcc, s[0:1], v[44:45]
	s_and_saveexec_b64 s[0:1], vcc
	s_cbranch_execz .LBB0_23
; %bb.1:
	s_load_dwordx4 s[16:19], s[4:5], 0x18
	v_mul_lo_u16_e32 v1, 39, v1
	v_sub_u16_e32 v42, v0, v1
	v_lshlrev_b32_e32 v75, 2, v42
	s_waitcnt lgkmcnt(0)
	s_load_dwordx4 s[12:15], s[16:17], 0x0
	s_waitcnt lgkmcnt(0)
	v_mad_u64_u32 v[0:1], s[0:1], s14, v44, 0
	v_mad_u64_u32 v[2:3], s[0:1], s12, v42, 0
	;; [unrolled: 1-line block ×3, first 2 shown]
	s_load_dwordx2 s[14:15], s[4:5], 0x0
	v_mad_u64_u32 v[5:6], s[0:1], s13, v42, v[3:4]
	v_mov_b32_e32 v1, v4
	v_lshlrev_b64 v[0:1], 2, v[0:1]
	v_mov_b32_e32 v6, s3
	v_mov_b32_e32 v3, v5
	v_add_co_u32_e32 v4, vcc, s2, v0
	v_addc_co_u32_e32 v5, vcc, v6, v1, vcc
	v_lshlrev_b64 v[0:1], 2, v[2:3]
	s_mov_b32 s0, 0xaaaaaaab
	v_add_co_u32_e32 v0, vcc, v4, v0
	s_mul_i32 s1, s13, 0x4b
	s_mul_hi_u32 s2, s12, 0x4b
	v_addc_co_u32_e32 v1, vcc, v5, v1, vcc
	v_mul_hi_u32 v3, v44, s0
	s_mul_i32 s0, s12, 0x4b
	s_add_i32 s1, s2, s1
	global_load_dword v2, v[0:1], off
	s_lshl_b64 s[2:3], s[0:1], 2
	s_waitcnt lgkmcnt(0)
	global_load_dword v100, v75, s[14:15]
	v_mov_b32_e32 v5, s3
	v_add_co_u32_e32 v0, vcc, s2, v0
	v_addc_co_u32_e32 v1, vcc, v1, v5, vcc
	s_load_dwordx2 s[6:7], s[4:5], 0x38
	s_load_dwordx4 s[8:11], s[18:19], 0x0
	global_load_dword v99, v75, s[14:15] offset:300
	global_load_dword v98, v75, s[14:15] offset:600
	global_load_dword v6, v[0:1], off
	v_add_co_u32_e32 v0, vcc, s2, v0
	v_addc_co_u32_e32 v1, vcc, v1, v5, vcc
	global_load_dword v7, v[0:1], off
	v_add_co_u32_e32 v0, vcc, s2, v0
	v_addc_co_u32_e32 v1, vcc, v1, v5, vcc
	global_load_dword v8, v[0:1], off
	global_load_dword v97, v75, s[14:15] offset:900
	global_load_dword v96, v75, s[14:15] offset:1200
	;; [unrolled: 1-line block ×5, first 2 shown]
	v_add_co_u32_e32 v0, vcc, s2, v0
	v_addc_co_u32_e32 v1, vcc, v1, v5, vcc
	global_load_dword v9, v[0:1], off
	global_load_dword v92, v75, s[14:15] offset:2400
	global_load_dword v91, v75, s[14:15] offset:2700
	v_add_co_u32_e32 v0, vcc, s2, v0
	v_addc_co_u32_e32 v1, vcc, v1, v5, vcc
	global_load_dword v10, v[0:1], off
	v_add_co_u32_e32 v0, vcc, s2, v0
	v_addc_co_u32_e32 v1, vcc, v1, v5, vcc
	global_load_dword v11, v[0:1], off
	v_add_co_u32_e32 v0, vcc, s2, v0
	v_addc_co_u32_e32 v1, vcc, v1, v5, vcc
	v_mov_b32_e32 v4, s15
	global_load_dword v12, v[0:1], off
	v_add_co_u32_e32 v40, vcc, s14, v75
	v_addc_co_u32_e32 v41, vcc, 0, v4, vcc
	v_add_co_u32_e32 v0, vcc, s2, v0
	v_addc_co_u32_e32 v1, vcc, v1, v5, vcc
	global_load_dword v4, v[0:1], off
	v_add_co_u32_e32 v0, vcc, s2, v0
	v_addc_co_u32_e32 v1, vcc, v1, v5, vcc
	global_load_dword v13, v[0:1], off
	;; [unrolled: 3-line block ×3, first 2 shown]
	global_load_dword v90, v75, s[14:15] offset:3000
	v_add_co_u32_e32 v0, vcc, s2, v0
	v_addc_co_u32_e32 v1, vcc, v1, v5, vcc
	global_load_dword v16, v[0:1], off
	global_load_dword v89, v75, s[14:15] offset:3300
	v_add_co_u32_e32 v0, vcc, s2, v0
	v_addc_co_u32_e32 v1, vcc, v1, v5, vcc
	global_load_dword v17, v[0:1], off
	global_load_dword v88, v75, s[14:15] offset:3600
	v_lshrrev_b32_e32 v3, 1, v3
	v_lshl_add_u32 v3, v3, 1, v3
	v_sub_u32_e32 v3, v44, v3
	v_mul_u32_u24_e32 v76, 0x3cf, v3
	v_lshlrev_b32_e32 v101, 2, v76
	v_add_u32_e32 v87, v75, v101
	v_cmp_gt_u16_e64 s[0:1], 36, v42
	s_waitcnt vmcnt(25)
	v_lshrrev_b32_e32 v3, 16, v2
	s_waitcnt vmcnt(24)
	v_mul_f16_sdwa v14, v100, v3 dst_sel:DWORD dst_unused:UNUSED_PAD src0_sel:WORD_1 src1_sel:DWORD
	v_fma_f16 v14, v100, v2, v14
	v_mul_f16_sdwa v2, v100, v2 dst_sel:DWORD dst_unused:UNUSED_PAD src0_sel:WORD_1 src1_sel:DWORD
	v_fma_f16 v2, v100, v3, -v2
	v_pack_b32_f16 v2, v14, v2
	s_waitcnt vmcnt(21)
	v_lshrrev_b32_e32 v3, 16, v6
	v_mul_f16_sdwa v5, v99, v3 dst_sel:DWORD dst_unused:UNUSED_PAD src0_sel:WORD_1 src1_sel:DWORD
	v_fma_f16 v5, v99, v6, v5
	v_mul_f16_sdwa v6, v99, v6 dst_sel:DWORD dst_unused:UNUSED_PAD src0_sel:WORD_1 src1_sel:DWORD
	v_fma_f16 v3, v99, v3, -v6
	v_pack_b32_f16 v3, v5, v3
	ds_write2_b32 v87, v2, v3 offset1:75
	s_waitcnt vmcnt(20)
	v_lshrrev_b32_e32 v2, 16, v7
	v_mul_f16_sdwa v3, v98, v2 dst_sel:DWORD dst_unused:UNUSED_PAD src0_sel:WORD_1 src1_sel:DWORD
	v_mul_f16_sdwa v5, v98, v7 dst_sel:DWORD dst_unused:UNUSED_PAD src0_sel:WORD_1 src1_sel:DWORD
	v_fma_f16 v3, v98, v7, v3
	v_fma_f16 v2, v98, v2, -v5
	v_pack_b32_f16 v2, v3, v2
	s_waitcnt vmcnt(19)
	v_lshrrev_b32_e32 v3, 16, v8
	s_waitcnt vmcnt(18)
	v_mul_f16_sdwa v5, v97, v3 dst_sel:DWORD dst_unused:UNUSED_PAD src0_sel:WORD_1 src1_sel:DWORD
	v_mul_f16_sdwa v6, v97, v8 dst_sel:DWORD dst_unused:UNUSED_PAD src0_sel:WORD_1 src1_sel:DWORD
	v_fma_f16 v5, v97, v8, v5
	v_fma_f16 v3, v97, v3, -v6
	v_pack_b32_f16 v3, v5, v3
	ds_write2_b32 v87, v2, v3 offset0:150 offset1:225
	s_waitcnt vmcnt(13)
	v_lshrrev_b32_e32 v2, 16, v9
	v_mul_f16_sdwa v3, v96, v2 dst_sel:DWORD dst_unused:UNUSED_PAD src0_sel:WORD_1 src1_sel:DWORD
	v_mul_f16_sdwa v5, v96, v9 dst_sel:DWORD dst_unused:UNUSED_PAD src0_sel:WORD_1 src1_sel:DWORD
	v_fma_f16 v3, v96, v9, v3
	v_fma_f16 v2, v96, v2, -v5
	v_pack_b32_f16 v3, v3, v2
	s_waitcnt vmcnt(10)
	v_lshrrev_b32_e32 v2, 16, v10
	v_mul_f16_sdwa v5, v95, v2 dst_sel:DWORD dst_unused:UNUSED_PAD src0_sel:WORD_1 src1_sel:DWORD
	v_mul_f16_sdwa v6, v95, v10 dst_sel:DWORD dst_unused:UNUSED_PAD src0_sel:WORD_1 src1_sel:DWORD
	v_fma_f16 v5, v95, v10, v5
	v_fma_f16 v2, v95, v2, -v6
	v_pack_b32_f16 v5, v5, v2
	v_add_u32_e32 v2, 0x400, v87
	ds_write2_b32 v2, v3, v5 offset0:44 offset1:119
	s_waitcnt vmcnt(9)
	v_lshrrev_b32_e32 v3, 16, v11
	v_mul_f16_sdwa v5, v94, v3 dst_sel:DWORD dst_unused:UNUSED_PAD src0_sel:WORD_1 src1_sel:DWORD
	v_mul_f16_sdwa v6, v94, v11 dst_sel:DWORD dst_unused:UNUSED_PAD src0_sel:WORD_1 src1_sel:DWORD
	v_fma_f16 v5, v94, v11, v5
	v_fma_f16 v3, v94, v3, -v6
	v_pack_b32_f16 v5, v5, v3
	s_waitcnt vmcnt(8)
	v_lshrrev_b32_e32 v3, 16, v12
	v_mul_f16_sdwa v6, v93, v3 dst_sel:DWORD dst_unused:UNUSED_PAD src0_sel:WORD_1 src1_sel:DWORD
	v_mul_f16_sdwa v7, v93, v12 dst_sel:DWORD dst_unused:UNUSED_PAD src0_sel:WORD_1 src1_sel:DWORD
	v_fma_f16 v6, v93, v12, v6
	v_fma_f16 v3, v93, v3, -v7
	v_pack_b32_f16 v6, v6, v3
	v_add_u32_e32 v3, 0x600, v87
	ds_write2_b32 v3, v5, v6 offset0:66 offset1:141
	s_waitcnt vmcnt(7)
	v_lshrrev_b32_e32 v5, 16, v4
	v_mul_f16_sdwa v6, v92, v5 dst_sel:DWORD dst_unused:UNUSED_PAD src0_sel:WORD_1 src1_sel:DWORD
	v_fma_f16 v6, v92, v4, v6
	v_mul_f16_sdwa v4, v92, v4 dst_sel:DWORD dst_unused:UNUSED_PAD src0_sel:WORD_1 src1_sel:DWORD
	v_fma_f16 v4, v92, v5, -v4
	v_pack_b32_f16 v5, v6, v4
	s_waitcnt vmcnt(6)
	v_lshrrev_b32_e32 v4, 16, v13
	v_mul_f16_sdwa v6, v91, v4 dst_sel:DWORD dst_unused:UNUSED_PAD src0_sel:WORD_1 src1_sel:DWORD
	v_mul_f16_sdwa v7, v91, v13 dst_sel:DWORD dst_unused:UNUSED_PAD src0_sel:WORD_1 src1_sel:DWORD
	v_fma_f16 v6, v91, v13, v6
	v_fma_f16 v4, v91, v4, -v7
	v_pack_b32_f16 v6, v6, v4
	v_add_u32_e32 v4, 0x800, v87
	ds_write2_b32 v4, v5, v6 offset0:88 offset1:163
	s_waitcnt vmcnt(5)
	v_lshrrev_b32_e32 v5, 16, v15
	s_waitcnt vmcnt(4)
	v_mul_f16_sdwa v6, v90, v5 dst_sel:DWORD dst_unused:UNUSED_PAD src0_sel:WORD_1 src1_sel:DWORD
	v_mul_f16_sdwa v7, v90, v15 dst_sel:DWORD dst_unused:UNUSED_PAD src0_sel:WORD_1 src1_sel:DWORD
	v_fma_f16 v6, v90, v15, v6
	v_fma_f16 v5, v90, v5, -v7
	v_pack_b32_f16 v6, v6, v5
	s_waitcnt vmcnt(3)
	v_lshrrev_b32_e32 v5, 16, v16
	s_waitcnt vmcnt(2)
	v_mul_f16_sdwa v7, v89, v5 dst_sel:DWORD dst_unused:UNUSED_PAD src0_sel:WORD_1 src1_sel:DWORD
	v_mul_f16_sdwa v8, v89, v16 dst_sel:DWORD dst_unused:UNUSED_PAD src0_sel:WORD_1 src1_sel:DWORD
	v_fma_f16 v7, v89, v16, v7
	v_fma_f16 v5, v89, v5, -v8
	v_pack_b32_f16 v7, v7, v5
	v_add_u32_e32 v5, 0xa00, v87
	ds_write2_b32 v5, v6, v7 offset0:110 offset1:185
	s_waitcnt vmcnt(1)
	v_lshrrev_b32_e32 v6, 16, v17
	s_waitcnt vmcnt(0)
	v_mul_f16_sdwa v7, v88, v6 dst_sel:DWORD dst_unused:UNUSED_PAD src0_sel:WORD_1 src1_sel:DWORD
	v_mul_f16_sdwa v8, v88, v17 dst_sel:DWORD dst_unused:UNUSED_PAD src0_sel:WORD_1 src1_sel:DWORD
	v_fma_f16 v7, v88, v17, v7
	v_fma_f16 v6, v88, v6, -v8
	v_pack_b32_f16 v6, v7, v6
	ds_write_b32 v87, v6 offset:3600
	s_and_saveexec_b64 s[16:17], s[0:1]
	s_cbranch_execz .LBB0_3
; %bb.2:
	v_mov_b32_e32 v6, 0xfffff28c
	v_mad_u64_u32 v[0:1], s[18:19], s12, v6, v[0:1]
	s_mulk_i32 s13, 0xf28c
	s_sub_i32 s12, s13, s12
	v_add_u32_e32 v1, s12, v1
	global_load_dword v6, v[0:1], off
	global_load_dword v7, v[40:41], off offset:156
	v_mov_b32_e32 v8, s3
	v_add_co_u32_e32 v0, vcc, s2, v0
	v_addc_co_u32_e32 v1, vcc, v1, v8, vcc
	global_load_dword v9, v[0:1], off
	global_load_dword v10, v[40:41], off offset:456
	v_add_co_u32_e32 v0, vcc, s2, v0
	v_addc_co_u32_e32 v1, vcc, v1, v8, vcc
	global_load_dword v11, v[0:1], off
	global_load_dword v12, v[40:41], off offset:756
	;; [unrolled: 4-line block ×11, first 2 shown]
	global_load_dword v31, v[40:41], off offset:3756
	v_add_co_u32_e32 v0, vcc, s2, v0
	v_addc_co_u32_e32 v1, vcc, v1, v8, vcc
	global_load_dword v0, v[0:1], off
	s_waitcnt vmcnt(25)
	v_lshrrev_b32_e32 v1, 16, v6
	s_waitcnt vmcnt(24)
	v_mul_f16_sdwa v8, v7, v6 dst_sel:DWORD dst_unused:UNUSED_PAD src0_sel:WORD_1 src1_sel:DWORD
	v_mul_f16_sdwa v32, v7, v1 dst_sel:DWORD dst_unused:UNUSED_PAD src0_sel:WORD_1 src1_sel:DWORD
	v_fma_f16 v1, v7, v1, -v8
	v_fma_f16 v6, v7, v6, v32
	v_pack_b32_f16 v1, v6, v1
	s_waitcnt vmcnt(23)
	v_lshrrev_b32_e32 v8, 16, v9
	s_waitcnt vmcnt(22)
	v_mul_f16_sdwa v7, v10, v8 dst_sel:DWORD dst_unused:UNUSED_PAD src0_sel:WORD_1 src1_sel:DWORD
	v_fma_f16 v6, v10, v9, v7
	v_mul_f16_sdwa v7, v10, v9 dst_sel:DWORD dst_unused:UNUSED_PAD src0_sel:WORD_1 src1_sel:DWORD
	v_fma_f16 v7, v10, v8, -v7
	v_pack_b32_f16 v6, v6, v7
	ds_write2_b32 v87, v1, v6 offset0:39 offset1:114
	s_waitcnt vmcnt(21)
	v_lshrrev_b32_e32 v1, 16, v11
	s_waitcnt vmcnt(20)
	v_mul_f16_sdwa v6, v12, v1 dst_sel:DWORD dst_unused:UNUSED_PAD src0_sel:WORD_1 src1_sel:DWORD
	v_mul_f16_sdwa v7, v12, v11 dst_sel:DWORD dst_unused:UNUSED_PAD src0_sel:WORD_1 src1_sel:DWORD
	v_fma_f16 v6, v12, v11, v6
	v_fma_f16 v1, v12, v1, -v7
	v_pack_b32_f16 v1, v6, v1
	s_waitcnt vmcnt(19)
	v_lshrrev_b32_e32 v6, 16, v13
	s_waitcnt vmcnt(18)
	v_mul_f16_sdwa v7, v14, v6 dst_sel:DWORD dst_unused:UNUSED_PAD src0_sel:WORD_1 src1_sel:DWORD
	v_mul_f16_sdwa v8, v14, v13 dst_sel:DWORD dst_unused:UNUSED_PAD src0_sel:WORD_1 src1_sel:DWORD
	v_fma_f16 v7, v14, v13, v7
	v_fma_f16 v6, v14, v6, -v8
	v_pack_b32_f16 v6, v7, v6
	v_add_u32_e32 v7, 0x200, v87
	ds_write2_b32 v7, v1, v6 offset0:61 offset1:136
	s_waitcnt vmcnt(17)
	v_lshrrev_b32_e32 v1, 16, v15
	s_waitcnt vmcnt(16)
	v_mul_f16_sdwa v6, v16, v1 dst_sel:DWORD dst_unused:UNUSED_PAD src0_sel:WORD_1 src1_sel:DWORD
	v_mul_f16_sdwa v7, v16, v15 dst_sel:DWORD dst_unused:UNUSED_PAD src0_sel:WORD_1 src1_sel:DWORD
	v_fma_f16 v6, v16, v15, v6
	v_fma_f16 v1, v16, v1, -v7
	v_pack_b32_f16 v1, v6, v1
	s_waitcnt vmcnt(15)
	v_lshrrev_b32_e32 v6, 16, v17
	s_waitcnt vmcnt(14)
	v_mul_f16_sdwa v7, v18, v6 dst_sel:DWORD dst_unused:UNUSED_PAD src0_sel:WORD_1 src1_sel:DWORD
	v_mul_f16_sdwa v8, v18, v17 dst_sel:DWORD dst_unused:UNUSED_PAD src0_sel:WORD_1 src1_sel:DWORD
	v_fma_f16 v7, v18, v17, v7
	v_fma_f16 v6, v18, v6, -v8
	v_pack_b32_f16 v6, v7, v6
	ds_write2_b32 v2, v1, v6 offset0:83 offset1:158
	s_waitcnt vmcnt(13)
	v_lshrrev_b32_e32 v1, 16, v19
	s_waitcnt vmcnt(12)
	v_mul_f16_sdwa v6, v20, v1 dst_sel:DWORD dst_unused:UNUSED_PAD src0_sel:WORD_1 src1_sel:DWORD
	v_mul_f16_sdwa v7, v20, v19 dst_sel:DWORD dst_unused:UNUSED_PAD src0_sel:WORD_1 src1_sel:DWORD
	v_fma_f16 v6, v20, v19, v6
	v_fma_f16 v1, v20, v1, -v7
	v_pack_b32_f16 v1, v6, v1
	s_waitcnt vmcnt(11)
	v_lshrrev_b32_e32 v6, 16, v21
	s_waitcnt vmcnt(10)
	v_mul_f16_sdwa v7, v22, v6 dst_sel:DWORD dst_unused:UNUSED_PAD src0_sel:WORD_1 src1_sel:DWORD
	v_mul_f16_sdwa v8, v22, v21 dst_sel:DWORD dst_unused:UNUSED_PAD src0_sel:WORD_1 src1_sel:DWORD
	v_fma_f16 v7, v22, v21, v7
	v_fma_f16 v6, v22, v6, -v8
	v_pack_b32_f16 v6, v7, v6
	;; [unrolled: 17-line block ×4, first 2 shown]
	v_add_u32_e32 v7, 0xc00, v87
	ds_write2_b32 v7, v1, v6 offset0:21 offset1:96
	s_waitcnt vmcnt(0)
	v_lshrrev_b32_e32 v1, 16, v0
	v_mul_f16_sdwa v6, v31, v1 dst_sel:DWORD dst_unused:UNUSED_PAD src0_sel:WORD_1 src1_sel:DWORD
	v_fma_f16 v6, v31, v0, v6
	v_mul_f16_sdwa v0, v31, v0 dst_sel:DWORD dst_unused:UNUSED_PAD src0_sel:WORD_1 src1_sel:DWORD
	v_fma_f16 v0, v31, v1, -v0
	v_pack_b32_f16 v0, v6, v0
	ds_write_b32 v87, v0 offset:3756
.LBB0_3:
	s_or_b64 exec, exec, s[16:17]
	s_waitcnt lgkmcnt(0)
	s_barrier
	ds_read2_b32 v[12:13], v87 offset1:75
	ds_read2_b32 v[20:21], v87 offset0:150 offset1:225
	ds_read2_b32 v[16:17], v2 offset0:44 offset1:119
	;; [unrolled: 1-line block ×5, first 2 shown]
	ds_read_b32 v62, v87 offset:3600
	s_load_dwordx2 s[4:5], s[4:5], 0x8
	v_mov_b32_e32 v0, 0
                                        ; implicit-def: $vgpr24
                                        ; implicit-def: $vgpr11
                                        ; implicit-def: $vgpr9
                                        ; implicit-def: $vgpr7
                                        ; implicit-def: $vgpr5
                                        ; implicit-def: $vgpr3
	s_and_saveexec_b64 s[2:3], s[0:1]
	s_cbranch_execz .LBB0_5
; %bb.4:
	v_add_u32_e32 v2, 0x200, v87
	v_add_u32_e32 v4, 0x400, v87
	;; [unrolled: 1-line block ×5, first 2 shown]
	ds_read2_b32 v[0:1], v87 offset0:39 offset1:114
	ds_read2_b32 v[2:3], v2 offset0:61 offset1:136
	;; [unrolled: 1-line block ×6, first 2 shown]
	ds_read_b32 v24, v87 offset:3756
.LBB0_5:
	s_or_b64 exec, exec, s[2:3]
	v_add_co_u32_e32 v73, vcc, 39, v42
	v_addc_co_u32_e64 v45, s[2:3], 0, 0, vcc
	s_waitcnt lgkmcnt(0)
	v_pk_add_f16 v25, v1, v24 neg_lo:[0,1] neg_hi:[0,1]
	s_mov_b32 s2, 0xb770
	v_pk_add_f16 v27, v24, v1
	s_movk_i32 s12, 0x3b15
	v_mul_f16_sdwa v47, v25, s2 dst_sel:DWORD dst_unused:UNUSED_PAD src0_sel:WORD_1 src1_sel:DWORD
	v_lshrrev_b32_e32 v37, 16, v27
	v_mul_f16_e32 v48, 0xb770, v25
	v_fma_f16 v26, v27, s12, v47
	v_add_f16_e32 v29, v26, v0
	v_fma_f16 v26, v37, s12, -v48
	v_add_f16_sdwa v30, v26, v0 dst_sel:DWORD dst_unused:UNUSED_PAD src0_sel:DWORD src1_sel:WORD_1
	v_pk_add_f16 v26, v2, v11 neg_lo:[0,1] neg_hi:[0,1]
	s_mov_b32 s24, 0xba95
	v_pk_add_f16 v28, v11, v2
	s_movk_i32 s13, 0x388b
	v_mul_f16_sdwa v50, v26, s24 dst_sel:DWORD dst_unused:UNUSED_PAD src0_sel:WORD_1 src1_sel:DWORD
	v_lshrrev_b32_e32 v38, 16, v28
	v_mul_f16_e32 v51, 0xba95, v26
	v_fma_f16 v31, v28, s13, v50
	v_add_f16_e32 v31, v31, v29
	v_fma_f16 v29, v38, s13, -v51
	v_add_f16_e32 v32, v29, v30
	v_pk_add_f16 v29, v3, v10 neg_lo:[0,1] neg_hi:[0,1]
	s_mov_b32 s26, 0xbbf1
	v_pk_add_f16 v30, v10, v3
	s_movk_i32 s16, 0x2fb7
	v_mul_f16_sdwa v53, v29, s26 dst_sel:DWORD dst_unused:UNUSED_PAD src0_sel:WORD_1 src1_sel:DWORD
	v_lshrrev_b32_e32 v39, 16, v30
	v_mul_f16_e32 v54, 0xbbf1, v29
	v_fma_f16 v33, v30, s16, v53
	v_add_f16_e32 v33, v33, v31
	v_fma_f16 v31, v39, s16, -v54
	v_add_f16_e32 v34, v31, v32
	v_pk_add_f16 v31, v4, v9 neg_lo:[0,1] neg_hi:[0,1]
	s_mov_b32 s17, 0xbb7b
	v_pk_add_f16 v32, v9, v4
	s_mov_b32 s18, 0xb5ac
	v_mul_f16_sdwa v55, v31, s17 dst_sel:DWORD dst_unused:UNUSED_PAD src0_sel:WORD_1 src1_sel:DWORD
	v_pk_add_f16 v61, v12, v13
	v_lshrrev_b32_e32 v46, 16, v32
	v_mul_f16_e32 v56, 0xbb7b, v31
	v_fma_f16 v35, v32, s18, v55
	v_add_f16_e32 v35, v35, v33
	v_fma_f16 v33, v46, s18, -v56
	v_pk_add_f16 v61, v61, v20
	v_add_f16_e32 v36, v33, v34
	v_pk_add_f16 v33, v5, v8 neg_lo:[0,1] neg_hi:[0,1]
	s_mov_b32 s19, 0xb94e
	v_pk_add_f16 v61, v61, v21
	v_pk_add_f16 v34, v8, v5
	s_mov_b32 s20, 0xb9fd
	v_mul_f16_sdwa v57, v33, s19 dst_sel:DWORD dst_unused:UNUSED_PAD src0_sel:WORD_1 src1_sel:DWORD
	v_pk_add_f16 v61, v61, v16
	v_lshrrev_b32_e32 v49, 16, v34
	v_mul_f16_e32 v58, 0xb94e, v33
	v_fma_f16 v52, v34, s20, v57
	v_pk_add_f16 v61, v61, v17
	v_add_f16_e32 v63, v52, v35
	v_fma_f16 v35, v49, s20, -v58
	v_pk_add_f16 v61, v61, v14
	v_add_f16_e32 v64, v35, v36
	v_pk_add_f16 v35, v6, v7 neg_lo:[0,1] neg_hi:[0,1]
	s_mov_b32 s21, 0xb3a8
	v_pk_add_f16 v61, v61, v15
	v_pk_add_f16 v36, v7, v6
	s_mov_b32 s22, 0xbbc4
	v_mul_f16_sdwa v59, v35, s21 dst_sel:DWORD dst_unused:UNUSED_PAD src0_sel:WORD_1 src1_sel:DWORD
	v_pk_add_f16 v61, v61, v18
	v_lshrrev_b32_e32 v52, 16, v36
	v_mul_f16_e32 v60, 0xb3a8, v35
	v_fma_f16 v65, v36, s22, v59
	v_pk_add_f16 v61, v61, v19
	v_add_f16_e32 v74, v65, v63
	v_fma_f16 v63, v52, s22, -v60
	v_pk_add_f16 v61, v61, v22
	v_add_f16_e32 v77, v63, v64
	v_mul_lo_u16_e32 v63, 13, v42
	v_pk_add_f16 v61, v61, v23
	v_lshl_add_u32 v102, v63, 2, v101
	v_pk_add_f16 v63, v61, v62
	v_pk_add_f16 v61, v62, v13
	v_pk_add_f16 v13, v13, v62 neg_lo:[0,1] neg_hi:[0,1]
	v_mul_f16_sdwa v62, v13, s2 dst_sel:DWORD dst_unused:UNUSED_PAD src0_sel:WORD_1 src1_sel:DWORD
	v_fma_f16 v64, v61, s12, -v62
	v_fma_f16 v62, v61, s12, v62
	s_mov_b32 s2, 0x3b15388b
	v_add_f16_e32 v65, v12, v62
	v_pk_mul_f16 v62, v61, s2
	s_mov_b32 s2, 0xba95b770
	v_pk_fma_f16 v66, v13, s2, v62 op_sel:[0,0,1] op_sel_hi:[1,1,0] neg_lo:[1,0,0] neg_hi:[1,0,0]
	v_pk_fma_f16 v62, v13, s2, v62 op_sel:[0,0,1] op_sel_hi:[1,1,0]
	s_mov_b32 s23, 0xffff
	v_lshrrev_b32_e32 v68, 16, v61
	v_mul_f16_e32 v69, 0xba95, v13
	v_bfi_b32 v67, s23, v62, v66
	v_pk_add_f16 v71, v12, v62 op_sel:[1,0] op_sel_hi:[0,1]
	v_fma_f16 v62, v68, s13, -v69
	v_fma_f16 v70, v68, s13, v69
	v_add_f16_sdwa v69, v12, v62 dst_sel:DWORD dst_unused:UNUSED_PAD src0_sel:WORD_1 src1_sel:DWORD
	v_mul_f16_sdwa v62, v13, s26 dst_sel:DWORD dst_unused:UNUSED_PAD src0_sel:WORD_1 src1_sel:DWORD
	v_fma_f16 v72, v61, s16, -v62
	v_mul_f16_e32 v78, 0xbbf1, v13
	v_fma_f16 v62, v61, s16, v62
	v_add_f16_e32 v80, v12, v62
	v_fma_f16 v62, v68, s16, -v78
	v_fma_f16 v79, v68, s16, v78
	v_add_f16_sdwa v78, v12, v62 dst_sel:DWORD dst_unused:UNUSED_PAD src0_sel:WORD_1 src1_sel:DWORD
	v_mul_f16_sdwa v62, v13, s17 dst_sel:DWORD dst_unused:UNUSED_PAD src0_sel:WORD_1 src1_sel:DWORD
	v_fma_f16 v81, v61, s18, -v62
	v_mul_f16_e32 v82, 0xbb7b, v13
	v_fma_f16 v62, v61, s18, v62
	v_add_f16_e32 v84, v12, v62
	;; [unrolled: 8-line block ×3, first 2 shown]
	v_fma_f16 v62, v68, s20, -v86
	v_fma_f16 v103, v68, s20, v86
	v_add_f16_sdwa v68, v12, v62 dst_sel:DWORD dst_unused:UNUSED_PAD src0_sel:WORD_1 src1_sel:DWORD
	v_pk_add_f16 v62, v23, v20
	v_pk_add_f16 v20, v20, v23 neg_lo:[0,1] neg_hi:[0,1]
	v_mul_f16_sdwa v23, v20, s24 dst_sel:DWORD dst_unused:UNUSED_PAD src0_sel:WORD_1 src1_sel:DWORD
	v_fma_f16 v86, v62, s13, -v23
	v_fma_f16 v23, v62, s13, v23
	s_mov_b32 s2, 0x388bb5ac
	v_add_f16_e32 v64, v12, v64
	v_add_f16_e32 v65, v23, v65
	v_pk_mul_f16 v23, v62, s2
	s_mov_b32 s2, 0xbb7bba95
	v_add_f16_e32 v64, v86, v64
	v_pk_fma_f16 v86, v20, s2, v23 op_sel:[0,0,1] op_sel_hi:[1,1,0] neg_lo:[1,0,0] neg_hi:[1,0,0]
	v_pk_fma_f16 v23, v20, s2, v23 op_sel:[0,0,1] op_sel_hi:[1,1,0]
	v_pk_add_f16 v67, v12, v67 op_sel:[1,0] op_sel_hi:[0,1]
	v_bfi_b32 v105, s23, v23, v86
	v_pk_add_f16 v67, v105, v67
	v_lshrrev_b32_e32 v105, 16, v62
	v_mul_f16_e32 v106, 0xbb7b, v20
	v_pk_add_f16 v71, v23, v71
	v_fma_f16 v23, v105, s18, -v106
	v_add_f16_e32 v69, v23, v69
	v_mul_f16_sdwa v23, v20, s21 dst_sel:DWORD dst_unused:UNUSED_PAD src0_sel:WORD_1 src1_sel:DWORD
	v_add_f16_e32 v72, v12, v72
	v_fma_f16 v107, v105, s18, v106
	v_fma_f16 v106, v62, s22, -v23
	v_add_f16_e32 v72, v106, v72
	v_mul_f16_e32 v106, 0xb3a8, v20
	v_fma_f16 v23, v62, s22, v23
	v_add_f16_e32 v80, v23, v80
	v_fma_f16 v23, v105, s22, -v106
	s_movk_i32 s28, 0x394e
	v_add_f16_sdwa v70, v12, v70 dst_sel:DWORD dst_unused:UNUSED_PAD src0_sel:WORD_1 src1_sel:DWORD
	v_add_f16_e32 v78, v23, v78
	v_mul_f16_sdwa v23, v20, s28 dst_sel:DWORD dst_unused:UNUSED_PAD src0_sel:WORD_1 src1_sel:DWORD
	v_add_f16_e32 v81, v12, v81
	v_add_f16_e32 v70, v107, v70
	v_fma_f16 v107, v105, s22, v106
	v_fma_f16 v106, v62, s20, -v23
	v_add_f16_e32 v81, v106, v81
	v_mul_f16_e32 v106, 0x394e, v20
	v_fma_f16 v23, v62, s20, v23
	v_add_f16_e32 v84, v23, v84
	v_fma_f16 v23, v105, s20, -v106
	s_movk_i32 s25, 0x3bf1
	v_add_f16_sdwa v79, v12, v79 dst_sel:DWORD dst_unused:UNUSED_PAD src0_sel:WORD_1 src1_sel:DWORD
	v_add_f16_e32 v82, v23, v82
	v_mul_f16_sdwa v23, v20, s25 dst_sel:DWORD dst_unused:UNUSED_PAD src0_sel:WORD_1 src1_sel:DWORD
	v_add_f16_e32 v85, v12, v85
	v_add_f16_e32 v79, v107, v79
	v_fma_f16 v107, v105, s20, v106
	v_fma_f16 v106, v62, s16, -v23
	v_add_f16_e32 v85, v106, v85
	v_mul_f16_e32 v106, 0x3bf1, v20
	v_fma_f16 v23, v62, s16, v23
	v_add_f16_e32 v104, v23, v104
	v_fma_f16 v23, v105, s16, -v106
	v_add_f16_e32 v68, v23, v68
	v_pk_add_f16 v23, v22, v21
	v_pk_add_f16 v21, v21, v22 neg_lo:[0,1] neg_hi:[0,1]
	v_add_f16_sdwa v83, v12, v83 dst_sel:DWORD dst_unused:UNUSED_PAD src0_sel:WORD_1 src1_sel:DWORD
	v_mul_f16_sdwa v22, v21, s26 dst_sel:DWORD dst_unused:UNUSED_PAD src0_sel:WORD_1 src1_sel:DWORD
	v_add_f16_e32 v83, v107, v83
	v_fma_f16 v107, v105, s16, v106
	v_fma_f16 v105, v23, s16, -v22
	v_fma_f16 v22, v23, s16, v22
	s_mov_b32 s2, 0x2fb7bbc4
	v_add_f16_e32 v65, v22, v65
	v_pk_mul_f16 v22, v23, s2
	s_mov_b32 s2, 0xb3a8bbf1
	v_add_f16_e32 v64, v105, v64
	v_pk_fma_f16 v105, v21, s2, v22 op_sel:[0,0,1] op_sel_hi:[1,1,0] neg_lo:[1,0,0] neg_hi:[1,0,0]
	v_pk_fma_f16 v22, v21, s2, v22 op_sel:[0,0,1] op_sel_hi:[1,1,0]
	v_add_f16_sdwa v103, v12, v103 dst_sel:DWORD dst_unused:UNUSED_PAD src0_sel:WORD_1 src1_sel:DWORD
	v_bfi_b32 v106, s23, v22, v105
	v_add_f16_e32 v103, v107, v103
	v_pk_add_f16 v67, v106, v67
	v_lshrrev_b32_e32 v106, 16, v23
	v_mul_f16_e32 v107, 0xb3a8, v21
	v_pk_add_f16 v71, v22, v71
	v_fma_f16 v22, v106, s22, -v107
	s_movk_i32 s2, 0x3b7b
	v_add_f16_e32 v69, v22, v69
	v_mul_f16_sdwa v22, v21, s2 dst_sel:DWORD dst_unused:UNUSED_PAD src0_sel:WORD_1 src1_sel:DWORD
	v_fma_f16 v108, v106, s22, v107
	v_fma_f16 v107, v23, s18, -v22
	v_add_f16_e32 v72, v107, v72
	v_mul_f16_e32 v107, 0x3b7b, v21
	v_fma_f16 v22, v23, s18, v22
	v_add_f16_e32 v80, v22, v80
	v_fma_f16 v22, v106, s18, -v107
	s_movk_i32 s27, 0x3770
	v_add_f16_e32 v78, v22, v78
	v_mul_f16_sdwa v22, v21, s27 dst_sel:DWORD dst_unused:UNUSED_PAD src0_sel:WORD_1 src1_sel:DWORD
	v_add_f16_e32 v70, v108, v70
	v_fma_f16 v108, v106, s18, v107
	v_fma_f16 v107, v23, s12, -v22
	v_add_f16_e32 v81, v107, v81
	v_mul_f16_e32 v107, 0x3770, v21
	v_fma_f16 v22, v23, s12, v22
	v_add_f16_e32 v84, v22, v84
	v_fma_f16 v22, v106, s12, -v107
	v_add_f16_e32 v82, v22, v82
	v_mul_f16_sdwa v22, v21, s24 dst_sel:DWORD dst_unused:UNUSED_PAD src0_sel:WORD_1 src1_sel:DWORD
	v_add_f16_e32 v79, v108, v79
	v_fma_f16 v108, v106, s12, v107
	v_fma_f16 v107, v23, s13, -v22
	v_add_f16_e32 v85, v107, v85
	v_mul_f16_e32 v107, 0xba95, v21
	v_fma_f16 v22, v23, s13, v22
	v_add_f16_e32 v104, v22, v104
	v_fma_f16 v22, v106, s13, -v107
	v_add_f16_e32 v68, v22, v68
	v_pk_add_f16 v22, v19, v16
	v_pk_add_f16 v19, v16, v19 neg_lo:[0,1] neg_hi:[0,1]
	v_mul_f16_sdwa v16, v19, s17 dst_sel:DWORD dst_unused:UNUSED_PAD src0_sel:WORD_1 src1_sel:DWORD
	v_add_f16_e32 v83, v108, v83
	v_fma_f16 v108, v106, s13, v107
	v_fma_f16 v106, v22, s18, -v16
	v_fma_f16 v16, v22, s18, v16
	s_mov_b32 s2, 0xb5acb9fd
	v_add_f16_e32 v65, v16, v65
	v_pk_mul_f16 v16, v22, s2
	s_mov_b32 s2, 0x394ebb7b
	v_pk_fma_f16 v107, v19, s2, v16 op_sel:[0,0,1] op_sel_hi:[1,1,0] neg_lo:[1,0,0] neg_hi:[1,0,0]
	v_pk_fma_f16 v16, v19, s2, v16 op_sel:[0,0,1] op_sel_hi:[1,1,0]
	v_add_f16_e32 v106, v106, v64
	v_bfi_b32 v64, s23, v16, v107
	v_add_f16_e32 v103, v108, v103
	v_pk_add_f16 v67, v64, v67
	v_lshrrev_b32_e32 v108, 16, v22
	v_mul_f16_e32 v64, 0x394e, v19
	v_fma_f16 v109, v108, s20, v64
	v_fma_f16 v64, v108, s20, -v64
	v_add_f16_e32 v69, v64, v69
	v_mul_f16_sdwa v64, v19, s27 dst_sel:DWORD dst_unused:UNUSED_PAD src0_sel:WORD_1 src1_sel:DWORD
	v_pk_add_f16 v16, v16, v71
	v_fma_f16 v71, v22, s12, -v64
	v_add_f16_e32 v71, v71, v72
	v_mul_f16_e32 v72, 0x3770, v19
	v_fma_f16 v64, v22, s12, v64
	v_add_f16_e32 v70, v109, v70
	v_fma_f16 v109, v108, s12, v72
	v_add_f16_e32 v80, v64, v80
	v_fma_f16 v64, v108, s12, -v72
	v_mul_f16_sdwa v72, v19, s26 dst_sel:DWORD dst_unused:UNUSED_PAD src0_sel:WORD_1 src1_sel:DWORD
	v_add_f16_e32 v64, v64, v78
	v_fma_f16 v78, v22, s16, -v72
	v_add_f16_e32 v78, v78, v81
	v_mul_f16_e32 v81, 0xbbf1, v19
	v_add_f16_e32 v79, v109, v79
	v_fma_f16 v109, v108, s16, v81
	v_fma_f16 v81, v108, s16, -v81
	s_movk_i32 s30, 0x33a8
	v_fma_f16 v72, v22, s16, v72
	v_add_f16_e32 v81, v81, v82
	v_mul_f16_sdwa v82, v19, s30 dst_sel:DWORD dst_unused:UNUSED_PAD src0_sel:WORD_1 src1_sel:DWORD
	v_add_f16_e32 v72, v72, v84
	v_fma_f16 v84, v22, s22, -v82
	v_add_f16_e32 v84, v84, v85
	v_mul_f16_e32 v85, 0x33a8, v19
	v_add_f16_e32 v83, v109, v83
	v_fma_f16 v109, v108, s22, v85
	v_fma_f16 v85, v108, s22, -v85
	v_add_f16_e32 v68, v85, v68
	v_pk_add_f16 v85, v18, v17
	v_pk_add_f16 v17, v17, v18 neg_lo:[0,1] neg_hi:[0,1]
	v_fma_f16 v82, v22, s22, v82
	v_mul_f16_sdwa v18, v17, s19 dst_sel:DWORD dst_unused:UNUSED_PAD src0_sel:WORD_1 src1_sel:DWORD
	v_add_f16_e32 v82, v82, v104
	v_fma_f16 v104, v85, s20, -v18
	v_fma_f16 v18, v85, s20, v18
	s_mov_b32 s2, 0xb9fd2fb7
	v_add_f16_e32 v18, v18, v65
	v_pk_mul_f16 v65, v85, s2
	s_mov_b32 s2, 0x3bf1b94e
	v_add_f16_e32 v104, v104, v106
	v_pk_fma_f16 v106, v17, s2, v65 op_sel:[0,0,1] op_sel_hi:[1,1,0] neg_lo:[1,0,0] neg_hi:[1,0,0]
	v_pk_fma_f16 v65, v17, s2, v65 op_sel:[0,0,1] op_sel_hi:[1,1,0]
	v_bfi_b32 v108, s23, v65, v106
	v_add_f16_e32 v103, v109, v103
	v_pk_add_f16 v67, v108, v67
	v_lshrrev_b32_e32 v108, 16, v85
	v_mul_f16_e32 v109, 0x3bf1, v17
	v_fma_f16 v110, v108, s16, v109
	v_fma_f16 v109, v108, s16, -v109
	v_add_f16_e32 v69, v109, v69
	v_mul_f16_sdwa v109, v17, s24 dst_sel:DWORD dst_unused:UNUSED_PAD src0_sel:WORD_1 src1_sel:DWORD
	v_add_f16_e32 v70, v110, v70
	v_fma_f16 v110, v85, s13, -v109
	v_add_f16_e32 v71, v110, v71
	v_mul_f16_e32 v110, 0xba95, v17
	v_fma_f16 v109, v85, s13, v109
	v_fma_f16 v111, v108, s13, v110
	v_add_f16_e32 v80, v109, v80
	v_fma_f16 v109, v108, s13, -v110
	v_mul_f16_sdwa v110, v17, s30 dst_sel:DWORD dst_unused:UNUSED_PAD src0_sel:WORD_1 src1_sel:DWORD
	v_add_f16_e32 v79, v111, v79
	v_fma_f16 v111, v85, s22, -v110
	v_add_f16_e32 v78, v111, v78
	v_mul_f16_e32 v111, 0x33a8, v17
	v_fma_f16 v110, v85, s22, v110
	v_add_f16_e32 v72, v110, v72
	v_fma_f16 v110, v108, s22, -v111
	v_add_f16_e32 v81, v110, v81
	v_mul_f16_sdwa v110, v17, s27 dst_sel:DWORD dst_unused:UNUSED_PAD src0_sel:WORD_1 src1_sel:DWORD
	v_fma_f16 v112, v108, s22, v111
	v_fma_f16 v111, v85, s12, -v110
	v_add_f16_e32 v84, v111, v84
	v_mul_f16_e32 v111, 0x3770, v17
	v_add_f16_e32 v83, v112, v83
	v_fma_f16 v112, v108, s12, v111
	v_fma_f16 v108, v108, s12, -v111
	v_add_f16_e32 v68, v108, v68
	v_pk_add_f16 v108, v15, v14
	v_pk_add_f16 v14, v14, v15 neg_lo:[0,1] neg_hi:[0,1]
	v_fma_f16 v110, v85, s12, v110
	v_mul_f16_sdwa v15, v14, s21 dst_sel:DWORD dst_unused:UNUSED_PAD src0_sel:WORD_1 src1_sel:DWORD
	v_add_f16_e32 v82, v110, v82
	v_fma_f16 v110, v108, s22, -v15
	v_fma_f16 v15, v108, s22, v15
	s_mov_b32 s2, 0xbbc43b15
	v_add_f16_e32 v15, v15, v18
	v_pk_mul_f16 v18, v108, s2
	s_mov_b32 s2, 0x3770b3a8
	v_add_f16_sdwa v66, v12, v66 dst_sel:DWORD dst_unused:UNUSED_PAD src0_sel:WORD_1 src1_sel:DWORD
	v_pk_fma_f16 v111, v14, s2, v18 op_sel:[0,0,1] op_sel_hi:[1,1,0] neg_lo:[1,0,0] neg_hi:[1,0,0]
	v_add_f16_e32 v66, v86, v66
	v_pk_fma_f16 v86, v14, s2, v18 op_sel:[0,0,1] op_sel_hi:[1,1,0]
	v_add_f16_e32 v66, v105, v66
	v_bfi_b32 v86, s23, v86, v111
	v_add_f16_e32 v66, v107, v66
	v_pk_add_f16 v67, v86, v67
	v_lshrrev_b32_e32 v86, 16, v108
	v_mul_f16_e32 v105, 0x3770, v14
	v_add_f16_e32 v66, v106, v66
	v_fma_f16 v106, v86, s12, v105
	v_fma_f16 v105, v86, s12, -v105
	v_add_f16_e32 v69, v105, v69
	v_mul_f16_sdwa v105, v14, s19 dst_sel:DWORD dst_unused:UNUSED_PAD src0_sel:WORD_1 src1_sel:DWORD
	v_add_f16_e32 v70, v106, v70
	v_fma_f16 v106, v108, s20, -v105
	v_add_f16_e32 v71, v106, v71
	v_mul_f16_e32 v106, 0xb9fd, v86
	v_fma_f16 v105, v108, s20, v105
	s_movk_i32 s29, 0x3a95
	v_add_f16_e32 v66, v111, v66
	v_fma_f16 v111, v14, s19, v106
	v_add_f16_e32 v80, v105, v80
	v_mul_f16_sdwa v105, v14, s29 dst_sel:DWORD dst_unused:UNUSED_PAD src0_sel:WORD_1 src1_sel:DWORD
	v_add_f16_e32 v79, v111, v79
	v_fma_f16 v111, v108, s13, -v105
	v_add_f16_e32 v78, v111, v78
	v_mul_f16_e32 v111, 0x3a95, v14
	v_fma_f16 v105, v108, s13, v105
	v_add_f16_e32 v72, v105, v72
	v_fma_f16 v105, v86, s13, -v111
	v_add_f16_e32 v81, v105, v81
	v_mul_f16_sdwa v105, v14, s17 dst_sel:DWORD dst_unused:UNUSED_PAD src0_sel:WORD_1 src1_sel:DWORD
	v_add_f16_e32 v103, v112, v103
	v_fma_f16 v112, v86, s13, v111
	v_fma_f16 v111, v108, s18, -v105
	v_add_f16_e32 v104, v110, v104
	v_add_f16_e32 v84, v111, v84
	v_mul_f16_e32 v111, 0xbb7b, v14
	v_add_f16_e32 v83, v112, v83
	v_fma_f16 v112, v86, s18, v111
	v_alignbit_b32 v70, v70, v67, 16
	v_pack_b32_f16 v67, v104, v67
	s_barrier
	v_add_f16_e32 v103, v112, v103
	ds_write2_b32 v102, v67, v70 offset0:1 offset1:2
	v_pack_b32_f16 v67, v78, v83
	v_pack_b32_f16 v70, v71, v79
	ds_write2_b32 v102, v70, v67 offset0:3 offset1:4
	v_pack_b32_f16 v67, v84, v103
	v_pk_mul_f16 v61, v61, s22 op_sel_hi:[1,0]
	ds_write2_b32 v102, v63, v67 offset1:5
	v_pk_fma_f16 v63, v13, s21, v61 op_sel:[0,0,1] op_sel_hi:[1,0,0] neg_lo:[1,0,0] neg_hi:[1,0,0]
	v_pk_fma_f16 v13, v13, s21, v61 op_sel:[0,0,1] op_sel_hi:[1,0,0]
	v_pk_add_f16 v63, v12, v63 op_sel:[1,0] op_sel_hi:[0,1]
	v_pk_add_f16 v12, v12, v13 op_sel:[1,0] op_sel_hi:[0,1]
	v_pk_mul_f16 v13, v62, s12 op_sel_hi:[1,0]
	v_pk_fma_f16 v61, v20, s27, v13 op_sel:[0,0,1] op_sel_hi:[1,0,0] neg_lo:[1,0,0] neg_hi:[1,0,0]
	v_pk_fma_f16 v13, v20, s27, v13 op_sel:[0,0,1] op_sel_hi:[1,0,0]
	v_pk_add_f16 v12, v13, v12
	v_pk_mul_f16 v13, v23, s20 op_sel_hi:[1,0]
	v_pk_fma_f16 v20, v21, s19, v13 op_sel:[0,0,1] op_sel_hi:[1,0,0] neg_lo:[1,0,0] neg_hi:[1,0,0]
	v_pk_fma_f16 v13, v21, s19, v13 op_sel:[0,0,1] op_sel_hi:[1,0,0]
	v_pk_add_f16 v12, v13, v12
	v_pk_mul_f16 v13, v22, s13 op_sel_hi:[1,0]
	v_pk_fma_f16 v21, v19, s29, v13 op_sel:[0,0,1] op_sel_hi:[1,0,0] neg_lo:[1,0,0] neg_hi:[1,0,0]
	v_pk_fma_f16 v13, v19, s29, v13 op_sel:[0,0,1] op_sel_hi:[1,0,0]
	v_pk_add_f16 v61, v61, v63
	v_pk_add_f16 v12, v13, v12
	v_pk_mul_f16 v13, v85, s18 op_sel_hi:[1,0]
	v_pk_add_f16 v20, v20, v61
	v_pk_fma_f16 v19, v17, s17, v13 op_sel:[0,0,1] op_sel_hi:[1,0,0] neg_lo:[1,0,0] neg_hi:[1,0,0]
	v_pk_fma_f16 v13, v17, s17, v13 op_sel:[0,0,1] op_sel_hi:[1,0,0]
	v_pk_add_f16 v20, v21, v20
	v_pk_add_f16 v12, v13, v12
	v_pk_mul_f16 v13, v108, s16 op_sel_hi:[1,0]
	v_pk_add_f16 v19, v19, v20
	v_pk_fma_f16 v17, v14, s25, v13 op_sel:[0,0,1] op_sel_hi:[1,0,0] neg_lo:[1,0,0] neg_hi:[1,0,0]
	v_pk_fma_f16 v13, v14, s25, v13 op_sel:[0,0,1] op_sel_hi:[1,0,0]
	v_fma_f16 v105, v108, s18, v105
	v_fma_f16 v86, v86, s18, -v111
	v_pk_add_f16 v17, v17, v19
	v_pk_add_f16 v12, v13, v12
	v_add_f16_e32 v82, v105, v82
	v_add_f16_e32 v68, v86, v68
	v_alignbit_b32 v13, v17, v12, 16
	v_alignbit_b32 v12, v12, v17, 16
	v_pk_mul_f16 v110, v14, s2
	ds_write2_b32 v102, v12, v13 offset0:6 offset1:7
	v_pack_b32_f16 v12, v72, v81
	v_pack_b32_f16 v13, v82, v68
	v_mul_f16_e32 v107, 0xb94e, v14
	ds_write2_b32 v102, v13, v12 offset0:8 offset1:9
	v_pack_b32_f16 v12, v109, v18
	v_bfi_b32 v13, s23, v64, v110
	v_pk_add_f16 v12, v12, v13
	v_bfi_b32 v13, s23, v107, v16
	v_pk_add_f16 v13, v106, v13 neg_lo:[0,1] neg_hi:[0,1]
	v_pk_add_f16 v14, v65, v16
	v_bfi_b32 v13, s23, v13, v14
	v_pk_add_f16 v12, v13, v12
	v_alignbit_b32 v13, v69, v12, 16
	v_pack_b32_f16 v12, v80, v12
	ds_write2_b32 v102, v12, v13 offset0:10 offset1:11
	v_pack_b32_f16 v12, v15, v66
	v_mul_u32_u24_e32 v103, 13, v73
	ds_write_b32 v102, v12 offset:48
	s_and_saveexec_b64 s[2:3], s[0:1]
	s_cbranch_execz .LBB0_7
; %bb.6:
	v_mul_f16_e32 v62, 0xb94e, v25
	v_fma_f16 v63, v37, s20, v62
	v_mul_f16_e32 v64, 0x3bf1, v26
	v_add_f16_sdwa v63, v63, v0 dst_sel:DWORD dst_unused:UNUSED_PAD src0_sel:DWORD src1_sel:WORD_1
	v_fma_f16 v65, v38, s16, v64
	v_add_f16_e32 v63, v65, v63
	v_mul_f16_e32 v65, 0xba95, v29
	v_fma_f16 v66, v39, s13, v65
	v_add_f16_e32 v63, v66, v63
	v_mul_f16_e32 v66, 0x33a8, v31
	;; [unrolled: 3-line block ×4, first 2 shown]
	v_fma_f16 v69, v52, s18, v68
	v_add_f16_e32 v63, v69, v63
	v_mul_f16_sdwa v69, v25, s19 dst_sel:DWORD dst_unused:UNUSED_PAD src0_sel:WORD_1 src1_sel:DWORD
	v_fma_f16 v70, v27, s20, -v69
	v_mul_f16_sdwa v71, v26, s25 dst_sel:DWORD dst_unused:UNUSED_PAD src0_sel:WORD_1 src1_sel:DWORD
	v_add_f16_e32 v70, v70, v0
	v_fma_f16 v72, v28, s16, -v71
	v_add_f16_e32 v70, v72, v70
	v_mul_f16_sdwa v72, v29, s24 dst_sel:DWORD dst_unused:UNUSED_PAD src0_sel:WORD_1 src1_sel:DWORD
	v_fma_f16 v78, v30, s13, -v72
	v_add_f16_e32 v70, v78, v70
	v_mul_f16_sdwa v78, v31, s30 dst_sel:DWORD dst_unused:UNUSED_PAD src0_sel:WORD_1 src1_sel:DWORD
	;; [unrolled: 3-line block ×4, first 2 shown]
	v_fma_f16 v81, v36, s18, -v80
	v_add_f16_e32 v70, v81, v70
	v_mul_f16_e32 v81, 0xbb7b, v25
	v_fma_f16 v82, v37, s18, v81
	v_mul_f16_e32 v83, 0x394e, v26
	v_add_f16_sdwa v82, v82, v0 dst_sel:DWORD dst_unused:UNUSED_PAD src0_sel:DWORD src1_sel:WORD_1
	v_fma_f16 v84, v38, s20, v83
	v_add_f16_e32 v82, v84, v82
	v_mul_f16_e32 v84, 0x3770, v29
	v_fma_f16 v85, v39, s12, v84
	v_add_f16_e32 v82, v85, v82
	v_mul_f16_e32 v85, 0xbbf1, v31
	;; [unrolled: 3-line block ×3, first 2 shown]
	v_mul_f16_e32 v13, 0x3b15, v27
	v_fma_f16 v104, v49, s22, v86
	v_mul_f16_e32 v105, 0x388b, v52
	v_mul_f16_e32 v14, 0x3b15, v37
	;; [unrolled: 1-line block ×3, first 2 shown]
	v_add_f16_e32 v82, v104, v82
	v_fma_f16 v106, v35, s29, v105
	v_sub_f16_e32 v13, v13, v47
	v_mul_f16_e32 v16, 0x388b, v38
	v_mul_f16_e32 v17, 0x2fb7, v30
	v_add_f16_e32 v82, v106, v82
	v_mul_f16_sdwa v106, v25, s17 dst_sel:DWORD dst_unused:UNUSED_PAD src0_sel:WORD_1 src1_sel:DWORD
	v_add_f16_e32 v14, v48, v14
	v_add_f16_e32 v13, v13, v0
	v_sub_f16_e32 v15, v15, v50
	v_mul_f16_e32 v18, 0x2fb7, v39
	v_mul_f16_e32 v19, 0xb5ac, v32
	v_fma_f16 v107, v27, s18, -v106
	v_mul_f16_sdwa v108, v26, s28 dst_sel:DWORD dst_unused:UNUSED_PAD src0_sel:WORD_1 src1_sel:DWORD
	v_add_f16_sdwa v14, v14, v0 dst_sel:DWORD dst_unused:UNUSED_PAD src0_sel:DWORD src1_sel:WORD_1
	v_add_f16_e32 v16, v51, v16
	v_add_f16_e32 v13, v15, v13
	v_sub_f16_e32 v15, v17, v53
	v_mul_f16_e32 v20, 0xb5ac, v46
	v_mul_f16_e32 v21, 0xb9fd, v34
	v_add_f16_e32 v107, v107, v0
	v_fma_f16 v109, v28, s20, -v108
	v_add_f16_e32 v14, v16, v14
	v_add_f16_e32 v16, v54, v18
	;; [unrolled: 1-line block ×3, first 2 shown]
	v_sub_f16_e32 v15, v19, v55
	v_mul_f16_e32 v22, 0xb9fd, v49
	v_mul_f16_e32 v23, 0xbbc4, v36
	v_add_f16_e32 v107, v109, v107
	v_mul_f16_sdwa v109, v29, s27 dst_sel:DWORD dst_unused:UNUSED_PAD src0_sel:WORD_1 src1_sel:DWORD
	v_add_f16_e32 v14, v16, v14
	v_add_f16_e32 v16, v56, v20
	v_add_f16_e32 v13, v15, v13
	v_sub_f16_e32 v15, v21, v57
	v_mul_f16_e32 v61, 0xbbc4, v52
	v_fma_f16 v110, v30, s12, -v109
	v_add_f16_e32 v14, v16, v14
	v_add_f16_e32 v16, v58, v22
	;; [unrolled: 1-line block ×3, first 2 shown]
	v_sub_f16_e32 v15, v23, v59
	v_add_f16_e32 v107, v110, v107
	v_mul_f16_sdwa v110, v31, s26 dst_sel:DWORD dst_unused:UNUSED_PAD src0_sel:WORD_1 src1_sel:DWORD
	v_add_f16_e32 v14, v16, v14
	v_add_f16_e32 v16, v60, v61
	;; [unrolled: 1-line block ×3, first 2 shown]
	v_fma_f16 v15, v37, s20, -v62
	v_fma_f16 v111, v32, s16, -v110
	v_add_f16_e32 v14, v16, v14
	v_add_f16_sdwa v15, v15, v0 dst_sel:DWORD dst_unused:UNUSED_PAD src0_sel:DWORD src1_sel:WORD_1
	v_fma_f16 v16, v38, s16, -v64
	v_add_f16_e32 v107, v111, v107
	v_mul_f16_sdwa v111, v33, s30 dst_sel:DWORD dst_unused:UNUSED_PAD src0_sel:WORD_1 src1_sel:DWORD
	v_add_f16_e32 v15, v16, v15
	v_fma_f16 v16, v39, s13, -v65
	v_fma_f16 v112, v34, s22, -v111
	v_add_f16_e32 v15, v16, v15
	v_fma_f16 v16, v46, s22, -v66
	v_add_f16_e32 v107, v112, v107
	v_mul_f16_sdwa v112, v35, s29 dst_sel:DWORD dst_unused:UNUSED_PAD src0_sel:WORD_1 src1_sel:DWORD
	v_add_f16_e32 v15, v16, v15
	v_fma_f16 v16, v49, s12, -v67
	v_fma_f16 v113, v36, s13, -v112
	v_add_f16_e32 v15, v16, v15
	v_fma_f16 v16, v52, s18, -v68
	v_alignbit_b32 v12, v0, v0, 16
	v_add_f16_e32 v107, v113, v107
	v_mul_f16_e32 v113, 0xbbf1, v25
	v_add_f16_e32 v15, v16, v15
	v_fma_f16 v16, v27, s20, v69
	v_fma_f16 v19, v27, s18, v106
	;; [unrolled: 1-line block ×3, first 2 shown]
	v_mul_f16_e32 v115, 0xb3a8, v26
	v_mul_f16_sdwa v127, v25, s24 dst_sel:DWORD dst_unused:UNUSED_PAD src0_sel:WORD_1 src1_sel:DWORD
	v_pk_add_f16 v1, v1, v12 op_sel:[0,1] op_sel_hi:[1,0]
	v_add_f16_e32 v16, v16, v0
	v_fma_f16 v17, v28, s16, v71
	v_add_f16_e32 v19, v19, v0
	v_fma_f16 v20, v28, s20, v108
	v_add_f16_sdwa v114, v114, v0 dst_sel:DWORD dst_unused:UNUSED_PAD src0_sel:DWORD src1_sel:WORD_1
	v_fma_f16 v116, v38, s22, v115
	v_fma_f16 v128, v27, s13, -v127
	v_mul_f16_sdwa v129, v26, s17 dst_sel:DWORD dst_unused:UNUSED_PAD src0_sel:WORD_1 src1_sel:DWORD
	v_add_f16_e32 v16, v17, v16
	v_fma_f16 v17, v30, s13, v72
	v_add_f16_e32 v19, v20, v19
	v_fma_f16 v20, v30, s12, v109
	v_pk_add_f16 v1, v2, v1
	v_add_f16_e32 v114, v116, v114
	v_mul_f16_e32 v116, 0x3b7b, v29
	v_add_f16_e32 v128, v128, v0
	v_fma_f16 v130, v28, s18, -v129
	v_add_f16_e32 v16, v17, v16
	v_fma_f16 v17, v32, s22, v78
	v_add_f16_e32 v19, v20, v19
	v_fma_f16 v20, v32, s16, v110
	v_pk_add_f16 v1, v3, v1
	v_fma_f16 v117, v39, s18, v116
	v_add_f16_e32 v128, v130, v128
	v_mul_f16_sdwa v130, v29, s21 dst_sel:DWORD dst_unused:UNUSED_PAD src0_sel:WORD_1 src1_sel:DWORD
	v_add_f16_e32 v16, v17, v16
	v_fma_f16 v17, v34, s12, v79
	v_add_f16_e32 v19, v20, v19
	v_fma_f16 v20, v34, s22, v111
	v_pk_add_f16 v1, v4, v1
	v_add_f16_e32 v114, v117, v114
	v_mul_f16_e32 v117, 0x3770, v31
	v_fma_f16 v131, v30, s22, -v130
	v_add_f16_e32 v16, v17, v16
	v_fma_f16 v17, v36, s18, v80
	v_add_f16_e32 v19, v20, v19
	v_fma_f16 v20, v36, s13, v112
	v_pk_add_f16 v1, v5, v1
	v_fma_f16 v118, v46, s12, v117
	v_add_f16_e32 v128, v131, v128
	v_mul_f16_sdwa v131, v31, s28 dst_sel:DWORD dst_unused:UNUSED_PAD src0_sel:WORD_1 src1_sel:DWORD
	v_add_f16_e32 v16, v17, v16
	v_fma_f16 v17, v37, s18, -v81
	v_add_f16_e32 v19, v20, v19
	v_fma_f16 v20, v37, s16, -v113
	v_fma_f16 v53, v27, s13, v127
	v_pk_add_f16 v1, v6, v1
	v_add_f16_e32 v114, v118, v114
	v_mul_f16_e32 v118, 0xba95, v33
	v_fma_f16 v132, v32, s20, -v131
	v_add_f16_sdwa v17, v17, v0 dst_sel:DWORD dst_unused:UNUSED_PAD src0_sel:DWORD src1_sel:WORD_1
	v_add_f16_sdwa v20, v20, v0 dst_sel:DWORD dst_unused:UNUSED_PAD src0_sel:DWORD src1_sel:WORD_1
	v_fma_f16 v21, v38, s22, -v115
	v_add_f16_e32 v0, v53, v0
	v_fma_f16 v53, v28, s18, v129
	v_pk_add_f16 v1, v7, v1
	v_fma_f16 v119, v49, s13, v118
	v_add_f16_e32 v128, v132, v128
	v_mul_f16_sdwa v132, v33, s25 dst_sel:DWORD dst_unused:UNUSED_PAD src0_sel:WORD_1 src1_sel:DWORD
	v_add_f16_e32 v20, v21, v20
	v_fma_f16 v21, v39, s18, -v116
	v_add_f16_e32 v0, v53, v0
	v_fma_f16 v53, v30, s22, v130
	v_pk_add_f16 v1, v8, v1
	v_add_f16_e32 v114, v119, v114
	v_mul_f16_e32 v119, 0xb94e, v35
	v_fma_f16 v133, v34, s16, -v132
	v_add_f16_e32 v20, v21, v20
	v_fma_f16 v21, v46, s12, -v117
	v_add_f16_e32 v0, v53, v0
	v_fma_f16 v53, v32, s20, v131
	v_pk_add_f16 v1, v9, v1
	v_fma_f16 v120, v52, s20, v119
	s_mov_b32 s26, 0x388b2fb7
	v_add_f16_e32 v128, v133, v128
	v_mul_f16_sdwa v133, v35, s27 dst_sel:DWORD dst_unused:UNUSED_PAD src0_sel:WORD_1 src1_sel:DWORD
	v_fma_f16 v18, v38, s20, -v83
	v_add_f16_e32 v20, v21, v20
	v_fma_f16 v21, v49, s13, -v118
	v_add_f16_e32 v0, v53, v0
	v_fma_f16 v53, v34, s16, v132
	v_pk_add_f16 v1, v10, v1
	v_add_f16_e32 v114, v120, v114
	v_pk_mul_f16 v120, v27, s26
	s_mov_b32 s26, 0xbbf1ba95
	s_mov_b32 s30, 0xb5acbbc4
	v_add_f16_e32 v17, v18, v17
	v_fma_f16 v18, v39, s12, -v84
	v_add_f16_e32 v20, v21, v20
	v_fma_f16 v21, v52, s20, -v119
	v_add_f16_e32 v0, v53, v0
	v_fma_f16 v53, v36, s12, v133
	v_pk_add_f16 v1, v11, v1
	v_pk_mul_f16 v121, v28, s30
	s_mov_b32 s30, 0xb3a8bb7b
	s_mov_b32 s31, 0xbbc4b5ac
	v_add_f16_e32 v17, v18, v17
	v_fma_f16 v18, v46, s16, -v85
	v_add_f16_e32 v20, v21, v20
	v_pk_fma_f16 v21, v25, s26, v120 op_sel:[0,0,1] op_sel_hi:[1,1,0]
	v_pk_fma_f16 v46, v25, s26, v120 op_sel:[0,0,1] op_sel_hi:[1,1,0] neg_lo:[1,0,0] neg_hi:[1,0,0]
	v_add_f16_e32 v0, v53, v0
	v_lshl_add_u32 v53, v103, 2, v101
	v_pk_add_f16 v1, v24, v1
	v_pack_b32_f16 v2, v13, v14
	v_pk_mul_f16 v122, v30, s31
	s_mov_b32 s31, 0x3b7bb3a8
	s_mov_b32 s33, 0xb9fd3b15
	v_pk_fma_f16 v23, v26, s30, v121 op_sel:[0,0,1] op_sel_hi:[1,1,0]
	v_pk_fma_f16 v47, v26, s30, v121 op_sel:[0,0,1] op_sel_hi:[1,1,0] neg_lo:[1,0,0] neg_hi:[1,0,0]
	ds_write2_b32 v53, v1, v2 offset1:1
	v_bfi_b32 v1, s23, v21, v46
	v_pk_mul_f16 v123, v32, s33
	s_mov_b32 s33, 0x3770394e
	s_mov_b32 s34, 0x2fb7388b
	v_pk_fma_f16 v37, v29, s31, v122 op_sel:[0,0,1] op_sel_hi:[1,1,0]
	v_pk_fma_f16 v48, v29, s31, v122 op_sel:[0,0,1] op_sel_hi:[1,1,0] neg_lo:[1,0,0] neg_hi:[1,0,0]
	v_pk_add_f16 v1, v1, v12
	v_bfi_b32 v2, s23, v23, v47
	v_pk_mul_f16 v124, v34, s34
	s_mov_b32 s34, 0xba953bf1
	v_add_f16_e32 v17, v18, v17
	v_fma_f16 v18, v49, s22, -v86
	v_pk_fma_f16 v38, v31, s33, v123 op_sel:[0,0,1] op_sel_hi:[1,1,0]
	v_pk_fma_f16 v49, v31, s33, v123 op_sel:[0,0,1] op_sel_hi:[1,1,0] neg_lo:[1,0,0] neg_hi:[1,0,0]
	v_pk_add_f16 v1, v2, v1
	v_bfi_b32 v2, s23, v37, v48
	s_mov_b32 s35, 0x3b15b9fd
	v_pk_fma_f16 v39, v33, s34, v124 op_sel:[0,0,1] op_sel_hi:[1,1,0]
	v_pk_fma_f16 v50, v33, s34, v124 op_sel:[0,0,1] op_sel_hi:[1,1,0] neg_lo:[1,0,0] neg_hi:[1,0,0]
	v_pk_add_f16 v1, v2, v1
	v_bfi_b32 v2, s23, v38, v49
	v_pk_mul_f16 v125, v36, s35
	s_mov_b32 s35, 0xb94e3770
	v_pk_add_f16 v1, v2, v1
	v_bfi_b32 v2, s23, v39, v50
	v_pk_fma_f16 v51, v35, s35, v125 op_sel:[0,0,1] op_sel_hi:[1,1,0] neg_lo:[1,0,0] neg_hi:[1,0,0]
	v_pk_add_f16 v1, v2, v1
	v_pk_fma_f16 v2, v35, s35, v125 op_sel:[0,0,1] op_sel_hi:[1,1,0]
	v_fma_f16 v134, v36, s12, -v133
	v_bfi_b32 v2, s23, v2, v51
	v_add_f16_e32 v128, v134, v128
	v_pk_add_f16 v1, v2, v1
	v_alignbit_b32 v2, v114, v1, 16
	v_pack_b32_f16 v1, v128, v1
	ds_write2_b32 v53, v1, v2 offset0:2 offset1:3
	v_pack_b32_f16 v1, v70, v63
	v_pack_b32_f16 v2, v107, v82
	ds_write2_b32 v53, v2, v1 offset0:4 offset1:5
	v_pk_mul_f16 v1, v27, s22 op_sel_hi:[1,0]
	v_pk_fma_f16 v2, v25, s21, v1 op_sel:[0,0,1] op_sel_hi:[1,0,0] neg_lo:[1,0,0] neg_hi:[1,0,0]
	v_pk_mul_f16 v3, v28, s12 op_sel_hi:[1,0]
	v_pk_add_f16 v2, v2, v12
	v_pk_fma_f16 v4, v26, s27, v3 op_sel:[0,0,1] op_sel_hi:[1,0,0] neg_lo:[1,0,0] neg_hi:[1,0,0]
	v_pk_add_f16 v2, v4, v2
	v_pk_mul_f16 v4, v30, s20 op_sel_hi:[1,0]
	v_pk_fma_f16 v5, v29, s19, v4 op_sel:[0,0,1] op_sel_hi:[1,0,0] neg_lo:[1,0,0] neg_hi:[1,0,0]
	v_pk_add_f16 v2, v5, v2
	v_pk_mul_f16 v5, v32, s13 op_sel_hi:[1,0]
	v_pk_fma_f16 v1, v25, s21, v1 op_sel:[0,0,1] op_sel_hi:[1,0,0]
	v_pk_fma_f16 v6, v31, s29, v5 op_sel:[0,0,1] op_sel_hi:[1,0,0] neg_lo:[1,0,0] neg_hi:[1,0,0]
	v_pk_add_f16 v1, v1, v12
	v_pk_fma_f16 v3, v26, s27, v3 op_sel:[0,0,1] op_sel_hi:[1,0,0]
	v_pk_add_f16 v2, v6, v2
	v_pk_mul_f16 v6, v34, s18 op_sel_hi:[1,0]
	v_pk_add_f16 v1, v3, v1
	v_pk_fma_f16 v3, v29, s19, v4 op_sel:[0,0,1] op_sel_hi:[1,0,0]
	v_pk_fma_f16 v7, v33, s17, v6 op_sel:[0,0,1] op_sel_hi:[1,0,0] neg_lo:[1,0,0] neg_hi:[1,0,0]
	v_pk_add_f16 v1, v3, v1
	v_pk_fma_f16 v3, v31, s29, v5 op_sel:[0,0,1] op_sel_hi:[1,0,0]
	v_pk_add_f16 v2, v7, v2
	v_pk_mul_f16 v7, v36, s16 op_sel_hi:[1,0]
	v_pk_add_f16 v1, v3, v1
	v_pk_fma_f16 v3, v33, s17, v6 op_sel:[0,0,1] op_sel_hi:[1,0,0]
	v_pk_add_f16 v22, v21, v12
	v_pk_fma_f16 v8, v35, s25, v7 op_sel:[0,0,1] op_sel_hi:[1,0,0] neg_lo:[1,0,0] neg_hi:[1,0,0]
	v_pk_add_f16 v1, v3, v1
	v_pk_fma_f16 v3, v35, s25, v7 op_sel:[0,0,1] op_sel_hi:[1,0,0]
	v_pk_add_f16 v22, v23, v22
	v_pk_add_f16 v2, v8, v2
	;; [unrolled: 1-line block ×4, first 2 shown]
	v_alignbit_b32 v3, v2, v1, 16
	v_alignbit_b32 v1, v1, v2, 16
	v_mul_f16_e32 v104, 0x3a95, v35
	v_pk_add_f16 v22, v38, v22
	ds_write2_b32 v53, v1, v3 offset0:6 offset1:7
	v_pack_b32_f16 v1, v16, v15
	v_add_f16_e32 v52, v46, v12
	ds_write_b32 v53, v1 offset:32
	v_bfi_b32 v1, s23, v104, v22
	v_pk_mul_f16 v126, v35, s35
	v_add_f16_e32 v52, v47, v52
	v_pk_add_f16 v1, v105, v1 neg_lo:[0,1] neg_hi:[0,1]
	v_pk_add_f16 v2, v39, v22
	v_add_f16_e32 v52, v48, v52
	v_bfi_b32 v1, s23, v1, v2
	v_pack_b32_f16 v2, v18, v125
	v_bfi_b32 v3, s23, v17, v126
	v_add_f16_e32 v52, v49, v52
	v_pk_add_f16 v2, v2, v3
	v_add_f16_e32 v52, v50, v52
	v_pk_add_f16 v1, v1, v2
	v_add_f16_e32 v52, v51, v52
	v_alignbit_b32 v2, v20, v1, 16
	v_pack_b32_f16 v1, v19, v1
	s_mov_b32 s12, 0x5040100
	ds_write2_b32 v53, v1, v2 offset0:9 offset1:10
	v_pack_b32_f16 v0, v0, v52
	v_perm_b32 v1, v77, v74, s12
	ds_write2_b32 v53, v0, v1 offset0:11 offset1:12
.LBB0_7:
	s_or_b64 exec, exec, s[2:3]
	s_movk_i32 s12, 0x4f
	v_mul_lo_u16_sdwa v0, v42, s12 dst_sel:DWORD dst_unused:UNUSED_PAD src0_sel:BYTE_0 src1_sel:DWORD
	v_lshrrev_b16_e32 v27, 10, v0
	v_mul_lo_u16_e32 v0, 13, v27
	v_sub_u16_e32 v60, v42, v0
	v_mov_b32_e32 v16, 4
	v_lshlrev_b32_sdwa v0, v16, v60 dst_sel:DWORD dst_unused:UNUSED_PAD src0_sel:DWORD src1_sel:BYTE_0
	s_waitcnt lgkmcnt(0)
	s_barrier
	ds_read2_b32 v[23:24], v87 offset1:39
	ds_read2_b32 v[20:21], v87 offset0:156 offset1:195
	global_load_dwordx4 v[0:3], v0, s[4:5]
	v_mul_lo_u16_sdwa v4, v73, s12 dst_sel:DWORD dst_unused:UNUSED_PAD src0_sel:BYTE_0 src1_sel:DWORD
	v_lshrrev_b16_e32 v65, 10, v4
	v_mul_lo_u16_e32 v4, 13, v65
	v_sub_u16_e32 v66, v73, v4
	v_lshlrev_b32_sdwa v4, v16, v66 dst_sel:DWORD dst_unused:UNUSED_PAD src0_sel:DWORD src1_sel:BYTE_0
	global_load_dwordx4 v[4:7], v4, s[4:5]
	s_movk_i32 s2, 0x4e
	v_add_co_u32_e32 v28, vcc, s2, v42
	v_mul_lo_u16_sdwa v8, v28, s12 dst_sel:DWORD dst_unused:UNUSED_PAD src0_sel:BYTE_0 src1_sel:DWORD
	v_lshrrev_b16_e32 v69, 10, v8
	v_mul_lo_u16_e32 v8, 13, v69
	v_sub_u16_e32 v70, v28, v8
	v_add_u32_e32 v22, 0x400, v87
	v_add_u32_e32 v30, 0x800, v87
	;; [unrolled: 1-line block ×4, first 2 shown]
	v_lshlrev_b32_sdwa v8, v16, v70 dst_sel:DWORD dst_unused:UNUSED_PAD src0_sel:DWORD src1_sel:BYTE_0
	ds_read2_b32 v[25:26], v22 offset0:134 offset1:173
	ds_read2_b32 v[36:37], v30 offset0:34 offset1:73
	;; [unrolled: 1-line block ×5, first 2 shown]
	v_addc_co_u32_e64 v29, s[2:3], 0, 0, vcc
	global_load_dwordx4 v[8:11], v8, s[4:5]
	s_movk_i32 s2, 0x75
	v_add_co_u32_e32 v32, vcc, s2, v42
	v_mul_lo_u16_sdwa v12, v32, s12 dst_sel:DWORD dst_unused:UNUSED_PAD src0_sel:BYTE_0 src1_sel:DWORD
	v_lshrrev_b16_e32 v81, 10, v12
	v_mul_lo_u16_e32 v12, 13, v81
	v_sub_u16_e32 v82, v32, v12
	v_lshlrev_b32_sdwa v12, v16, v82 dst_sel:DWORD dst_unused:UNUSED_PAD src0_sel:DWORD src1_sel:BYTE_0
	ds_read2_b32 v[50:51], v87 offset0:78 offset1:117
	ds_read2_b32 v[52:53], v22 offset0:212 offset1:251
	v_addc_co_u32_e64 v33, s[2:3], 0, 0, vcc
	global_load_dwordx4 v[12:15], v12, s[4:5]
	s_movk_i32 s2, 0x9c
	v_add_co_u32_e32 v34, vcc, s2, v42
	v_mul_lo_u16_sdwa v17, v34, s12 dst_sel:DWORD dst_unused:UNUSED_PAD src0_sel:BYTE_0 src1_sel:DWORD
	v_lshrrev_b16_e32 v86, 10, v17
	v_mul_lo_u16_e32 v17, 13, v86
	v_sub_u16_e32 v108, v34, v17
	v_lshlrev_b32_sdwa v16, v16, v108 dst_sel:DWORD dst_unused:UNUSED_PAD src0_sel:DWORD src1_sel:BYTE_0
	global_load_dwordx4 v[16:19], v16, s[4:5]
	s_waitcnt lgkmcnt(7)
	v_lshrrev_b32_e32 v62, 16, v21
	s_waitcnt lgkmcnt(6)
	v_lshrrev_b32_e32 v63, 16, v25
	;; [unrolled: 2-line block ×5, first 2 shown]
	v_lshrrev_b32_e32 v72, 16, v26
	s_waitcnt lgkmcnt(2)
	v_lshrrev_b32_e32 v79, 16, v48
	v_lshrrev_b32_e32 v80, 16, v39
	;; [unrolled: 1-line block ×3, first 2 shown]
	ds_read2_b32 v[54:55], v31 offset0:90 offset1:129
	s_waitcnt lgkmcnt(1)
	v_lshrrev_b32_e32 v85, 16, v52
	ds_read2_b32 v[56:57], v22 offset0:56 offset1:95
	v_lshrrev_b32_e32 v104, 16, v49
	ds_read2_b32 v[58:59], v30 offset0:190 offset1:229
	s_waitcnt lgkmcnt(2)
	v_lshrrev_b32_e32 v105, 16, v54
	v_lshrrev_b32_e32 v109, 16, v53
	s_waitcnt lgkmcnt(1)
	v_lshrrev_b32_e32 v107, 16, v56
	v_lshrrev_b32_e32 v111, 16, v55
	;; [unrolled: 3-line block ×3, first 2 shown]
	ds_read_b32 v112, v87 offset:3744
	v_lshrrev_b32_e32 v115, 16, v36
	v_lshrrev_b32_e32 v116, 16, v59
	v_addc_co_u32_e64 v35, s[2:3], 0, 0, vcc
	s_waitcnt lgkmcnt(0)
	v_lshrrev_b32_e32 v117, 16, v112
	s_movk_i32 s3, 0x3b9c
	s_mov_b32 s13, 0xbb9c
	s_movk_i32 s2, 0x38b4
	s_mov_b32 s16, 0xb8b4
	s_movk_i32 s12, 0x34f2
	v_lshrrev_b32_e32 v61, 16, v23
	v_lshrrev_b32_e32 v68, 16, v24
	s_waitcnt vmcnt(4)
	v_mul_f16_sdwa v118, v62, v0 dst_sel:DWORD dst_unused:UNUSED_PAD src0_sel:DWORD src1_sel:WORD_1
	v_fma_f16 v118, v21, v0, -v118
	v_mul_f16_sdwa v21, v21, v0 dst_sel:DWORD dst_unused:UNUSED_PAD src0_sel:DWORD src1_sel:WORD_1
	v_fma_f16 v21, v62, v0, v21
	v_mul_f16_sdwa v62, v63, v1 dst_sel:DWORD dst_unused:UNUSED_PAD src0_sel:DWORD src1_sel:WORD_1
	v_fma_f16 v62, v25, v1, -v62
	v_mul_f16_sdwa v25, v25, v1 dst_sel:DWORD dst_unused:UNUSED_PAD src0_sel:DWORD src1_sel:WORD_1
	v_fma_f16 v25, v63, v1, v25
	v_mul_f16_sdwa v63, v64, v2 dst_sel:DWORD dst_unused:UNUSED_PAD src0_sel:DWORD src1_sel:WORD_1
	v_fma_f16 v63, v37, v2, -v63
	v_mul_f16_sdwa v37, v37, v2 dst_sel:DWORD dst_unused:UNUSED_PAD src0_sel:DWORD src1_sel:WORD_1
	v_fma_f16 v37, v64, v2, v37
	v_mul_f16_sdwa v64, v67, v3 dst_sel:DWORD dst_unused:UNUSED_PAD src0_sel:DWORD src1_sel:WORD_1
	v_fma_f16 v64, v38, v3, -v64
	v_mul_f16_sdwa v38, v38, v3 dst_sel:DWORD dst_unused:UNUSED_PAD src0_sel:DWORD src1_sel:WORD_1
	v_fma_f16 v38, v67, v3, v38
	s_waitcnt vmcnt(3)
	v_mul_f16_sdwa v67, v71, v4 dst_sel:DWORD dst_unused:UNUSED_PAD src0_sel:DWORD src1_sel:WORD_1
	v_fma_f16 v67, v46, v4, -v67
	v_mul_f16_sdwa v46, v46, v4 dst_sel:DWORD dst_unused:UNUSED_PAD src0_sel:DWORD src1_sel:WORD_1
	v_fma_f16 v46, v71, v4, v46
	v_mul_f16_sdwa v71, v72, v5 dst_sel:DWORD dst_unused:UNUSED_PAD src0_sel:DWORD src1_sel:WORD_1
	v_fma_f16 v71, v26, v5, -v71
	v_mul_f16_sdwa v26, v26, v5 dst_sel:DWORD dst_unused:UNUSED_PAD src0_sel:DWORD src1_sel:WORD_1
	v_fma_f16 v26, v72, v5, v26
	v_mul_f16_sdwa v72, v79, v6 dst_sel:DWORD dst_unused:UNUSED_PAD src0_sel:DWORD src1_sel:WORD_1
	v_fma_f16 v72, v48, v6, -v72
	v_mul_f16_sdwa v48, v48, v6 dst_sel:DWORD dst_unused:UNUSED_PAD src0_sel:DWORD src1_sel:WORD_1
	v_fma_f16 v48, v79, v6, v48
	v_mul_f16_sdwa v79, v80, v7 dst_sel:DWORD dst_unused:UNUSED_PAD src0_sel:DWORD src1_sel:WORD_1
	v_fma_f16 v79, v39, v7, -v79
	v_mul_f16_sdwa v39, v39, v7 dst_sel:DWORD dst_unused:UNUSED_PAD src0_sel:DWORD src1_sel:WORD_1
	v_fma_f16 v39, v80, v7, v39
	;; [unrolled: 17-line block ×4, first 2 shown]
	s_waitcnt vmcnt(0)
	v_mul_f16_sdwa v111, v114, v16 dst_sel:DWORD dst_unused:UNUSED_PAD src0_sel:DWORD src1_sel:WORD_1
	v_fma_f16 v111, v57, v16, -v111
	v_mul_f16_sdwa v57, v57, v16 dst_sel:DWORD dst_unused:UNUSED_PAD src0_sel:DWORD src1_sel:WORD_1
	v_fma_f16 v57, v114, v16, v57
	v_mul_f16_sdwa v114, v115, v17 dst_sel:DWORD dst_unused:UNUSED_PAD src0_sel:DWORD src1_sel:WORD_1
	v_fma_f16 v114, v36, v17, -v114
	v_mul_f16_sdwa v36, v36, v17 dst_sel:DWORD dst_unused:UNUSED_PAD src0_sel:DWORD src1_sel:WORD_1
	v_fma_f16 v36, v115, v17, v36
	v_mul_f16_sdwa v115, v116, v18 dst_sel:DWORD dst_unused:UNUSED_PAD src0_sel:DWORD src1_sel:WORD_1
	v_add_f16_e32 v119, v62, v63
	v_fma_f16 v115, v59, v18, -v115
	v_mul_f16_sdwa v59, v59, v18 dst_sel:DWORD dst_unused:UNUSED_PAD src0_sel:DWORD src1_sel:WORD_1
	v_fma_f16 v119, v119, -0.5, v23
	v_sub_f16_e32 v120, v21, v38
	v_fma_f16 v59, v116, v18, v59
	v_mul_f16_sdwa v116, v117, v19 dst_sel:DWORD dst_unused:UNUSED_PAD src0_sel:DWORD src1_sel:WORD_1
	v_fma_f16 v121, v120, s3, v119
	v_sub_f16_e32 v122, v25, v37
	v_sub_f16_e32 v123, v118, v62
	;; [unrolled: 1-line block ×3, first 2 shown]
	v_fma_f16 v119, v120, s13, v119
	v_fma_f16 v116, v112, v19, -v116
	v_mul_f16_sdwa v112, v112, v19 dst_sel:DWORD dst_unused:UNUSED_PAD src0_sel:DWORD src1_sel:WORD_1
	v_fma_f16 v121, v122, s2, v121
	v_add_f16_e32 v123, v123, v124
	v_fma_f16 v119, v122, s16, v119
	v_fma_f16 v112, v117, v19, v112
	v_add_f16_e32 v117, v23, v118
	v_fma_f16 v121, v123, s12, v121
	v_fma_f16 v119, v123, s12, v119
	v_add_f16_e32 v123, v118, v64
	v_add_f16_e32 v117, v117, v62
	v_fma_f16 v23, v123, -0.5, v23
	v_add_f16_e32 v117, v117, v63
	v_fma_f16 v123, v122, s13, v23
	v_fma_f16 v23, v122, s3, v23
	v_add_f16_e32 v122, v25, v37
	v_add_f16_e32 v117, v117, v64
	v_sub_f16_e32 v124, v62, v118
	v_sub_f16_e32 v125, v63, v64
	v_fma_f16 v122, v122, -0.5, v61
	v_sub_f16_e32 v64, v118, v64
	v_fma_f16 v123, v120, s2, v123
	v_add_f16_e32 v124, v124, v125
	v_fma_f16 v23, v120, s16, v23
	v_fma_f16 v118, v64, s13, v122
	v_sub_f16_e32 v62, v62, v63
	v_fma_f16 v123, v124, s12, v123
	v_fma_f16 v23, v124, s12, v23
	v_fma_f16 v63, v62, s16, v118
	v_sub_f16_e32 v118, v21, v25
	v_sub_f16_e32 v124, v38, v37
	v_fma_f16 v122, v64, s3, v122
	v_add_f16_e32 v120, v61, v21
	v_add_f16_e32 v118, v118, v124
	v_fma_f16 v122, v62, s2, v122
	v_add_f16_e32 v120, v120, v25
	v_fma_f16 v63, v118, s12, v63
	v_fma_f16 v118, v118, s12, v122
	v_add_f16_e32 v122, v21, v38
	v_add_f16_e32 v120, v120, v37
	v_fma_f16 v61, v122, -0.5, v61
	v_add_f16_e32 v120, v120, v38
	v_fma_f16 v122, v62, s3, v61
	v_sub_f16_e32 v21, v25, v21
	v_sub_f16_e32 v25, v37, v38
	v_add_f16_e32 v38, v71, v72
	v_fma_f16 v122, v64, s16, v122
	v_add_f16_e32 v21, v21, v25
	v_fma_f16 v37, v62, s13, v61
	v_fma_f16 v38, v38, -0.5, v24
	v_sub_f16_e32 v61, v46, v39
	v_fma_f16 v25, v21, s12, v122
	v_fma_f16 v37, v64, s2, v37
	;; [unrolled: 1-line block ×3, first 2 shown]
	v_sub_f16_e32 v64, v26, v48
	v_sub_f16_e32 v122, v67, v71
	;; [unrolled: 1-line block ×3, first 2 shown]
	v_fma_f16 v38, v61, s13, v38
	v_fma_f16 v62, v64, s2, v62
	v_add_f16_e32 v122, v122, v124
	v_fma_f16 v38, v64, s16, v38
	v_fma_f16 v62, v122, s12, v62
	;; [unrolled: 1-line block ×3, first 2 shown]
	v_add_f16_e32 v122, v67, v79
	v_fma_f16 v21, v21, s12, v37
	v_add_f16_e32 v37, v24, v67
	v_fma_f16 v24, v122, -0.5, v24
	v_add_f16_e32 v37, v37, v71
	v_fma_f16 v122, v64, s13, v24
	v_fma_f16 v24, v64, s3, v24
	v_add_f16_e32 v64, v26, v48
	v_add_f16_e32 v37, v37, v72
	v_sub_f16_e32 v124, v71, v67
	v_sub_f16_e32 v125, v72, v79
	v_fma_f16 v64, v64, -0.5, v68
	v_sub_f16_e32 v67, v67, v79
	v_add_f16_e32 v37, v37, v79
	v_fma_f16 v122, v61, s2, v122
	v_add_f16_e32 v124, v124, v125
	v_fma_f16 v24, v61, s16, v24
	v_fma_f16 v79, v67, s13, v64
	v_sub_f16_e32 v71, v71, v72
	v_fma_f16 v122, v124, s12, v122
	v_fma_f16 v24, v124, s12, v24
	v_fma_f16 v72, v71, s16, v79
	v_sub_f16_e32 v79, v46, v26
	v_sub_f16_e32 v124, v39, v48
	v_fma_f16 v64, v67, s3, v64
	v_add_f16_e32 v61, v68, v46
	v_add_f16_e32 v79, v79, v124
	v_fma_f16 v64, v71, s2, v64
	v_add_f16_e32 v61, v61, v26
	v_fma_f16 v72, v79, s12, v72
	v_fma_f16 v64, v79, s12, v64
	v_add_f16_e32 v79, v46, v39
	v_add_f16_e32 v61, v61, v48
	v_fma_f16 v68, v79, -0.5, v68
	v_add_f16_e32 v61, v61, v39
	v_fma_f16 v79, v71, s3, v68
	v_sub_f16_e32 v26, v26, v46
	v_sub_f16_e32 v39, v48, v39
	v_fma_f16 v46, v71, s13, v68
	v_add_f16_e32 v48, v84, v85
	v_fma_f16 v79, v67, s16, v79
	v_add_f16_e32 v26, v26, v39
	v_fma_f16 v46, v67, s2, v46
	v_fma_f16 v48, v48, -0.5, v50
	v_sub_f16_e32 v67, v47, v54
	v_fma_f16 v39, v26, s12, v79
	v_fma_f16 v68, v67, s3, v48
	v_sub_f16_e32 v71, v52, v49
	v_sub_f16_e32 v79, v80, v84
	v_sub_f16_e32 v124, v104, v85
	v_fma_f16 v48, v67, s13, v48
	v_fma_f16 v68, v71, s2, v68
	v_add_f16_e32 v79, v79, v124
	v_fma_f16 v48, v71, s16, v48
	v_fma_f16 v68, v79, s12, v68
	v_fma_f16 v48, v79, s12, v48
	v_add_f16_e32 v79, v80, v104
	v_lshrrev_b32_e32 v83, 16, v50
	v_fma_f16 v26, v26, s12, v46
	v_add_f16_e32 v46, v50, v80
	v_fma_f16 v50, v79, -0.5, v50
	v_fma_f16 v79, v71, s13, v50
	v_sub_f16_e32 v124, v84, v80
	v_sub_f16_e32 v125, v85, v104
	v_add_f16_e32 v46, v46, v84
	v_fma_f16 v79, v67, s2, v79
	v_add_f16_e32 v124, v124, v125
	v_fma_f16 v50, v71, s3, v50
	v_add_f16_e32 v71, v52, v49
	v_add_f16_e32 v46, v46, v85
	v_fma_f16 v125, v124, s12, v79
	v_fma_f16 v71, v71, -0.5, v83
	v_sub_f16_e32 v79, v80, v104
	v_add_f16_e32 v46, v46, v104
	v_fma_f16 v80, v79, s13, v71
	v_sub_f16_e32 v84, v84, v85
	v_sub_f16_e32 v85, v47, v52
	;; [unrolled: 1-line block ×3, first 2 shown]
	v_fma_f16 v50, v67, s16, v50
	v_add_f16_e32 v67, v83, v47
	v_fma_f16 v80, v84, s16, v80
	v_add_f16_e32 v85, v85, v104
	;; [unrolled: 2-line block ×4, first 2 shown]
	v_add_f16_e32 v67, v67, v49
	v_fma_f16 v80, v80, -0.5, v83
	v_add_f16_e32 v67, v67, v54
	v_fma_f16 v71, v79, s3, v71
	v_fma_f16 v83, v84, s3, v80
	v_sub_f16_e32 v47, v52, v47
	v_sub_f16_e32 v49, v49, v54
	v_fma_f16 v52, v84, s13, v80
	v_add_f16_e32 v54, v107, v109
	v_fma_f16 v71, v84, s2, v71
	v_fma_f16 v83, v79, s16, v83
	v_add_f16_e32 v47, v47, v49
	v_fma_f16 v52, v79, s2, v52
	v_fma_f16 v54, v54, -0.5, v51
	v_sub_f16_e32 v79, v56, v55
	v_fma_f16 v71, v85, s12, v71
	v_fma_f16 v49, v47, s12, v83
	;; [unrolled: 1-line block ×3, first 2 shown]
	v_sub_f16_e32 v83, v53, v58
	v_sub_f16_e32 v84, v105, v107
	;; [unrolled: 1-line block ×3, first 2 shown]
	v_fma_f16 v80, v83, s2, v80
	v_add_f16_e32 v84, v84, v85
	v_fma_f16 v85, v84, s12, v80
	v_add_f16_e32 v80, v105, v110
	v_lshrrev_b32_e32 v106, 16, v51
	v_fma_f16 v47, v47, s12, v52
	v_add_f16_e32 v52, v51, v105
	v_fma_f16 v51, v80, -0.5, v51
	v_fma_f16 v80, v83, s13, v51
	v_fma_f16 v51, v83, s3, v51
	;; [unrolled: 1-line block ×5, first 2 shown]
	v_add_f16_e32 v79, v106, v56
	v_fma_f16 v54, v83, s16, v54
	v_add_f16_e32 v79, v79, v53
	v_fma_f16 v54, v84, s12, v54
	v_sub_f16_e32 v84, v107, v105
	v_sub_f16_e32 v104, v109, v110
	v_add_f16_e32 v79, v79, v58
	v_add_f16_e32 v84, v84, v104
	;; [unrolled: 1-line block ×4, first 2 shown]
	v_fma_f16 v126, v84, s12, v80
	v_fma_f16 v79, v79, -0.5, v106
	v_sub_f16_e32 v80, v105, v110
	v_add_f16_e32 v52, v52, v107
	v_fma_f16 v51, v84, s12, v51
	v_fma_f16 v84, v80, s13, v79
	v_sub_f16_e32 v104, v107, v109
	v_sub_f16_e32 v105, v56, v53
	;; [unrolled: 1-line block ×3, first 2 shown]
	v_fma_f16 v79, v80, s3, v79
	v_add_f16_e32 v105, v105, v107
	v_fma_f16 v79, v104, s2, v79
	v_add_f16_e32 v52, v52, v109
	;; [unrolled: 2-line block ×3, first 2 shown]
	v_fma_f16 v84, v104, s16, v84
	v_fma_f16 v79, v79, -0.5, v106
	v_fma_f16 v84, v105, s12, v84
	v_fma_f16 v105, v104, s3, v79
	v_sub_f16_e32 v53, v53, v56
	v_sub_f16_e32 v55, v58, v55
	v_fma_f16 v56, v104, s13, v79
	v_add_f16_e32 v58, v114, v115
	v_fma_f16 v105, v80, s16, v105
	v_add_f16_e32 v53, v53, v55
	v_fma_f16 v56, v80, s2, v56
	v_fma_f16 v58, v58, -0.5, v20
	v_sub_f16_e32 v80, v57, v112
	v_fma_f16 v55, v53, s12, v105
	v_fma_f16 v79, v80, s3, v58
	v_sub_f16_e32 v104, v36, v59
	v_sub_f16_e32 v105, v111, v114
	;; [unrolled: 1-line block ×3, first 2 shown]
	v_fma_f16 v58, v80, s13, v58
	v_fma_f16 v79, v104, s2, v79
	v_add_f16_e32 v105, v105, v106
	v_fma_f16 v58, v104, s16, v58
	v_add_f16_e32 v52, v52, v110
	v_fma_f16 v110, v105, s12, v79
	v_fma_f16 v79, v105, s12, v58
	v_add_f16_e32 v58, v111, v116
	v_lshrrev_b32_e32 v113, 16, v20
	v_fma_f16 v53, v53, s12, v56
	v_add_f16_e32 v56, v20, v111
	v_fma_f16 v20, v58, -0.5, v20
	v_fma_f16 v58, v104, s13, v20
	v_fma_f16 v20, v104, s3, v20
	v_fma_f16 v58, v80, s2, v58
	v_fma_f16 v20, v80, s16, v20
	v_add_f16_e32 v80, v113, v57
	v_add_f16_e32 v80, v80, v36
	;; [unrolled: 1-line block ×3, first 2 shown]
	v_sub_f16_e32 v105, v114, v111
	v_sub_f16_e32 v106, v115, v116
	v_add_f16_e32 v127, v80, v112
	v_add_f16_e32 v80, v36, v59
	;; [unrolled: 1-line block ×3, first 2 shown]
	v_fma_f16 v80, v80, -0.5, v113
	v_sub_f16_e32 v104, v111, v116
	v_fma_f16 v58, v105, s12, v58
	v_fma_f16 v20, v105, s12, v20
	;; [unrolled: 1-line block ×3, first 2 shown]
	v_sub_f16_e32 v106, v114, v115
	v_sub_f16_e32 v107, v57, v36
	;; [unrolled: 1-line block ×3, first 2 shown]
	v_fma_f16 v105, v106, s16, v105
	v_add_f16_e32 v107, v107, v111
	v_fma_f16 v111, v107, s12, v105
	v_fma_f16 v80, v104, s3, v80
	v_add_f16_e32 v105, v57, v112
	v_fma_f16 v80, v106, s2, v80
	v_fma_f16 v105, v105, -0.5, v113
	v_mul_u32_u24_e32 v27, 0x41, v27
	v_fma_f16 v80, v107, s12, v80
	v_fma_f16 v107, v106, s3, v105
	v_sub_f16_e32 v36, v36, v57
	v_sub_f16_e32 v57, v59, v112
	v_fma_f16 v59, v106, s13, v105
	v_add_u32_sdwa v27, v27, v60 dst_sel:DWORD dst_unused:UNUSED_PAD src0_sel:DWORD src1_sel:BYTE_0
	v_fma_f16 v107, v104, s16, v107
	v_fma_f16 v59, v104, s2, v59
	v_lshl_add_u32 v104, v27, 2, v101
	v_pack_b32_f16 v25, v123, v25
	v_pack_b32_f16 v21, v23, v21
	s_barrier
	ds_write2_b32 v104, v25, v21 offset0:26 offset1:39
	v_pack_b32_f16 v21, v119, v118
	ds_write_b32 v104, v21 offset:208
	v_mul_u32_u24_e32 v21, 0x41, v65
	v_add_f16_e32 v36, v36, v57
	v_add_u32_sdwa v21, v21, v66 dst_sel:DWORD dst_unused:UNUSED_PAD src0_sel:DWORD src1_sel:BYTE_0
	v_fma_f16 v57, v36, s12, v107
	v_fma_f16 v36, v36, s12, v59
	v_pack_b32_f16 v27, v117, v120
	v_pack_b32_f16 v59, v121, v63
	v_lshl_add_u32 v105, v21, 2, v101
	v_pack_b32_f16 v21, v37, v61
	v_pack_b32_f16 v23, v62, v72
	ds_write2_b32 v104, v27, v59 offset1:13
	ds_write2_b32 v105, v21, v23 offset1:13
	v_pack_b32_f16 v21, v122, v39
	v_pack_b32_f16 v23, v24, v26
	ds_write2_b32 v105, v21, v23 offset0:26 offset1:39
	v_pack_b32_f16 v21, v38, v64
	ds_write_b32 v105, v21 offset:208
	v_mul_u32_u24_e32 v21, 0x41, v69
	v_add_u32_sdwa v21, v21, v70 dst_sel:DWORD dst_unused:UNUSED_PAD src0_sel:DWORD src1_sel:BYTE_0
	v_lshl_add_u32 v106, v21, 2, v101
	v_pack_b32_f16 v21, v46, v67
	v_pack_b32_f16 v23, v68, v124
	ds_write2_b32 v106, v21, v23 offset1:13
	v_pack_b32_f16 v21, v125, v49
	v_pack_b32_f16 v23, v50, v47
	ds_write2_b32 v106, v21, v23 offset0:26 offset1:39
	v_pack_b32_f16 v21, v48, v71
	ds_write_b32 v106, v21 offset:208
	v_mul_u32_u24_e32 v21, 0x41, v81
	v_add_u32_sdwa v21, v21, v82 dst_sel:DWORD dst_unused:UNUSED_PAD src0_sel:DWORD src1_sel:BYTE_0
	v_lshl_add_u32 v107, v21, 2, v101
	v_pack_b32_f16 v21, v52, v83
	v_pack_b32_f16 v23, v85, v84
	ds_write2_b32 v107, v21, v23 offset1:13
	v_pack_b32_f16 v21, v126, v55
	v_pack_b32_f16 v23, v51, v53
	v_add_f16_e32 v56, v56, v114
	ds_write2_b32 v107, v21, v23 offset0:26 offset1:39
	v_pack_b32_f16 v21, v54, v109
	v_add_f16_e32 v56, v56, v115
	ds_write_b32 v107, v21 offset:208
	v_mul_u32_u24_e32 v21, 0x41, v86
	v_add_f16_e32 v56, v56, v116
	v_add_u32_sdwa v21, v21, v108 dst_sel:DWORD dst_unused:UNUSED_PAD src0_sel:DWORD src1_sel:BYTE_0
	v_lshl_add_u32 v108, v21, 2, v101
	v_pack_b32_f16 v21, v56, v127
	v_pack_b32_f16 v23, v110, v111
	ds_write2_b32 v108, v21, v23 offset1:13
	v_pack_b32_f16 v21, v58, v57
	v_pack_b32_f16 v20, v20, v36
	ds_write2_b32 v108, v21, v20 offset0:26 offset1:39
	v_pack_b32_f16 v20, v79, v80
	ds_write_b32 v108, v20 offset:208
	s_waitcnt lgkmcnt(0)
	s_barrier
	ds_read2_b32 v[26:27], v87 offset1:39
	ds_read2_b32 v[71:72], v22 offset0:69 offset1:108
	ds_read2_b32 v[69:70], v30 offset0:138 offset1:177
	;; [unrolled: 1-line block ×6, first 2 shown]
	v_add_u32_e32 v20, 0x600, v87
	ds_read2_b32 v[63:64], v20 offset0:97 offset1:136
	ds_read2_b32 v[38:39], v31 offset0:38 offset1:77
	;; [unrolled: 1-line block ×5, first 2 shown]
	v_cmp_gt_u16_e64 s[2:3], 13, v42
                                        ; implicit-def: $vgpr81
                                        ; implicit-def: $vgpr82
	s_and_saveexec_b64 s[12:13], s[2:3]
	s_cbranch_execz .LBB0_9
; %bb.8:
	ds_read_b32 v79, v87 offset:1248
	ds_read_b32 v74, v87 offset:2548
	;; [unrolled: 1-line block ×3, first 2 shown]
	s_waitcnt lgkmcnt(2)
	v_lshrrev_b32_e32 v80, 16, v79
	s_waitcnt lgkmcnt(1)
	v_lshrrev_b32_e32 v77, 16, v74
	;; [unrolled: 2-line block ×3, first 2 shown]
.LBB0_9:
	s_or_b64 exec, exec, s[12:13]
	v_lshlrev_b64 v[46:47], 3, v[42:43]
	v_add_co_u32_e32 v59, vcc, 0xea, v42
	v_mov_b32_e32 v43, s5
	v_add_co_u32_e32 v55, vcc, s4, v46
	v_addc_co_u32_e32 v56, vcc, v43, v47, vcc
	s_movk_i32 s12, 0xffe6
	v_add_co_u32_e32 v46, vcc, s12, v42
	v_addc_co_u32_e64 v49, s[12:13], 0, -1, vcc
	v_cmp_gt_u16_e32 vcc, 26, v42
	v_cndmask_b32_e32 v84, v49, v45, vcc
	v_cndmask_b32_e32 v83, v46, v73, vcc
	v_lshlrev_b64 v[45:46], 3, v[83:84]
	s_movk_i32 s12, 0xfd
	v_add_co_u32_e32 v45, vcc, s4, v45
	v_addc_co_u32_e32 v46, vcc, v43, v46, vcc
	global_load_dwordx2 v[47:48], v[55:56], off offset:208
	global_load_dwordx2 v[51:52], v[45:46], off offset:208
	v_mul_lo_u16_sdwa v45, v32, s12 dst_sel:DWORD dst_unused:UNUSED_PAD src0_sel:BYTE_0 src1_sel:DWORD
	v_lshrrev_b16_e32 v84, 14, v45
	v_mul_lo_u16_e32 v45, 0x41, v84
	v_sub_u16_e32 v115, v32, v45
	v_mov_b32_e32 v45, 3
	v_lshlrev_b32_sdwa v45, v45, v115 dst_sel:DWORD dst_unused:UNUSED_PAD src0_sel:DWORD src1_sel:BYTE_0
	global_load_dwordx2 v[49:50], v45, s[4:5] offset:208
	global_load_dwordx2 v[53:54], v[55:56], off offset:312
	v_mul_lo_u16_sdwa v45, v34, s12 dst_sel:DWORD dst_unused:UNUSED_PAD src0_sel:BYTE_0 src1_sel:DWORD
	v_add_u16_e32 v46, 0xc3, v42
	v_lshrrev_b16_e32 v45, 14, v45
	v_mul_lo_u16_sdwa v55, v46, s12 dst_sel:DWORD dst_unused:UNUSED_PAD src0_sel:BYTE_0 src1_sel:DWORD
	v_mul_lo_u16_e32 v45, 0x41, v45
	v_lshrrev_b16_e32 v55, 14, v55
	v_sub_u16_e32 v45, v34, v45
	v_mul_lo_u16_e32 v55, 0x41, v55
	v_and_b32_e32 v119, 0xff, v45
	v_sub_u16_e32 v46, v46, v55
	v_lshlrev_b32_e32 v45, 3, v119
	v_and_b32_e32 v120, 0xff, v46
	global_load_dwordx2 v[57:58], v45, s[4:5] offset:208
	v_lshlrev_b32_e32 v45, 3, v120
	s_movk_i32 s12, 0xfc1
	global_load_dwordx2 v[55:56], v45, s[4:5] offset:208
	v_mul_u32_u24_sdwa v45, v59, s12 dst_sel:DWORD dst_unused:UNUSED_PAD src0_sel:WORD_0 src1_sel:DWORD
	v_lshrrev_b32_e32 v121, 18, v45
	v_mul_lo_u16_e32 v45, 0x41, v121
	v_sub_u16_e32 v122, v59, v45
	v_lshlrev_b16_e32 v45, 3, v122
	v_add_co_u32_e32 v45, vcc, s4, v45
	v_add_u32_e32 v61, 0x111, v42
	v_addc_co_u32_e32 v46, vcc, 0, v43, vcc
	global_load_dwordx2 v[59:60], v[45:46], off offset:208
	v_mul_u32_u24_sdwa v45, v61, s12 dst_sel:DWORD dst_unused:UNUSED_PAD src0_sel:WORD_0 src1_sel:DWORD
	v_lshrrev_b32_e32 v45, 18, v45
	v_mul_lo_u16_e32 v45, 0x41, v45
	v_sub_u16_e32 v123, v61, v45
	v_lshlrev_b16_e32 v45, 3, v123
	v_add_co_u32_e32 v45, vcc, s4, v45
	v_add_u32_e32 v85, 0x138, v42
	v_addc_co_u32_e32 v46, vcc, 0, v43, vcc
	global_load_dwordx2 v[61:62], v[45:46], off offset:208
	v_mul_u32_u24_sdwa v45, v85, s12 dst_sel:DWORD dst_unused:UNUSED_PAD src0_sel:WORD_0 src1_sel:DWORD
	v_lshrrev_b32_e32 v45, 18, v45
	v_mul_lo_u16_e32 v45, 0x41, v45
	v_sub_u16_e32 v85, v85, v45
	v_lshlrev_b16_e32 v45, 3, v85
	v_add_co_u32_e32 v45, vcc, s4, v45
	v_addc_co_u32_e32 v46, vcc, 0, v43, vcc
	global_load_dwordx2 v[45:46], v[45:46], off offset:208
	s_waitcnt lgkmcnt(10)
	v_lshrrev_b32_e32 v109, 16, v71
	s_waitcnt lgkmcnt(9)
	v_lshrrev_b32_e32 v110, 16, v69
	v_lshrrev_b32_e32 v112, 16, v72
	v_lshrrev_b32_e32 v113, 16, v70
	s_waitcnt lgkmcnt(7)
	v_lshrrev_b32_e32 v116, 16, v67
	s_waitcnt lgkmcnt(6)
	v_lshrrev_b32_e32 v117, 16, v65
	v_lshrrev_b32_e32 v43, 16, v68
	v_lshrrev_b32_e32 v124, 16, v66
	;; [unrolled: 6-line block ×4, first 2 shown]
	v_lshrrev_b32_e32 v86, 16, v26
	s_movk_i32 s13, 0x3aee
	s_mov_b32 s16, 0xbaee
	v_lshrrev_b32_e32 v111, 16, v27
	v_lshrrev_b32_e32 v114, 16, v24
	;; [unrolled: 1-line block ×4, first 2 shown]
	s_waitcnt vmcnt(8)
	v_mul_f16_sdwa v137, v109, v47 dst_sel:DWORD dst_unused:UNUSED_PAD src0_sel:DWORD src1_sel:WORD_1
	v_fma_f16 v137, v71, v47, -v137
	v_mul_f16_sdwa v71, v71, v47 dst_sel:DWORD dst_unused:UNUSED_PAD src0_sel:DWORD src1_sel:WORD_1
	v_fma_f16 v71, v109, v47, v71
	v_mul_f16_sdwa v109, v110, v48 dst_sel:DWORD dst_unused:UNUSED_PAD src0_sel:DWORD src1_sel:WORD_1
	v_fma_f16 v109, v69, v48, -v109
	v_mul_f16_sdwa v69, v69, v48 dst_sel:DWORD dst_unused:UNUSED_PAD src0_sel:DWORD src1_sel:WORD_1
	v_fma_f16 v69, v110, v48, v69
	s_waitcnt vmcnt(7)
	v_mul_f16_sdwa v110, v112, v51 dst_sel:DWORD dst_unused:UNUSED_PAD src0_sel:DWORD src1_sel:WORD_1
	v_fma_f16 v110, v72, v51, -v110
	v_mul_f16_sdwa v72, v72, v51 dst_sel:DWORD dst_unused:UNUSED_PAD src0_sel:DWORD src1_sel:WORD_1
	v_fma_f16 v72, v112, v51, v72
	v_mul_f16_sdwa v112, v113, v52 dst_sel:DWORD dst_unused:UNUSED_PAD src0_sel:DWORD src1_sel:WORD_1
	v_fma_f16 v112, v70, v52, -v112
	v_mul_f16_sdwa v70, v70, v52 dst_sel:DWORD dst_unused:UNUSED_PAD src0_sel:DWORD src1_sel:WORD_1
	v_fma_f16 v70, v113, v52, v70
	;; [unrolled: 9-line block ×3, first 2 shown]
	v_mul_f16_sdwa v117, v43, v49 dst_sel:DWORD dst_unused:UNUSED_PAD src0_sel:DWORD src1_sel:WORD_1
	v_fma_f16 v117, v68, v49, -v117
	v_mul_f16_sdwa v68, v68, v49 dst_sel:DWORD dst_unused:UNUSED_PAD src0_sel:DWORD src1_sel:WORD_1
	v_fma_f16 v43, v43, v49, v68
	v_mul_f16_sdwa v68, v124, v50 dst_sel:DWORD dst_unused:UNUSED_PAD src0_sel:DWORD src1_sel:WORD_1
	v_fma_f16 v68, v66, v50, -v68
	v_mul_f16_sdwa v66, v66, v50 dst_sel:DWORD dst_unused:UNUSED_PAD src0_sel:DWORD src1_sel:WORD_1
	v_fma_f16 v66, v124, v50, v66
	s_waitcnt vmcnt(4)
	v_mul_f16_sdwa v124, v126, v57 dst_sel:DWORD dst_unused:UNUSED_PAD src0_sel:DWORD src1_sel:WORD_1
	v_fma_f16 v124, v63, v57, -v124
	v_mul_f16_sdwa v63, v63, v57 dst_sel:DWORD dst_unused:UNUSED_PAD src0_sel:DWORD src1_sel:WORD_1
	v_fma_f16 v63, v126, v57, v63
	v_mul_f16_sdwa v126, v127, v58 dst_sel:DWORD dst_unused:UNUSED_PAD src0_sel:DWORD src1_sel:WORD_1
	v_fma_f16 v126, v38, v58, -v126
	v_mul_f16_sdwa v38, v38, v58 dst_sel:DWORD dst_unused:UNUSED_PAD src0_sel:DWORD src1_sel:WORD_1
	v_fma_f16 v38, v127, v58, v38
	s_waitcnt vmcnt(3)
	;; [unrolled: 9-line block ×4, first 2 shown]
	v_mul_f16_sdwa v30, v135, v61 dst_sel:DWORD dst_unused:UNUSED_PAD src0_sel:DWORD src1_sel:WORD_1
	v_fma_f16 v139, v37, v61, -v30
	v_mul_f16_sdwa v30, v37, v61 dst_sel:DWORD dst_unused:UNUSED_PAD src0_sel:DWORD src1_sel:WORD_1
	v_fma_f16 v135, v135, v61, v30
	v_mul_f16_sdwa v30, v136, v62 dst_sel:DWORD dst_unused:UNUSED_PAD src0_sel:DWORD src1_sel:WORD_1
	v_fma_f16 v140, v31, v62, -v30
	v_mul_f16_sdwa v30, v31, v62 dst_sel:DWORD dst_unused:UNUSED_PAD src0_sel:DWORD src1_sel:WORD_1
	s_waitcnt vmcnt(0)
	v_mul_f16_sdwa v31, v74, v45 dst_sel:DWORD dst_unused:UNUSED_PAD src0_sel:DWORD src1_sel:WORD_1
	v_fma_f16 v136, v136, v62, v30
	v_mul_f16_sdwa v30, v77, v45 dst_sel:DWORD dst_unused:UNUSED_PAD src0_sel:DWORD src1_sel:WORD_1
	v_fma_f16 v36, v77, v45, v31
	v_add_f16_e32 v77, v137, v109
	v_fma_f16 v30, v74, v45, -v30
	v_mul_f16_sdwa v31, v82, v46 dst_sel:DWORD dst_unused:UNUSED_PAD src0_sel:DWORD src1_sel:WORD_1
	v_add_f16_e32 v74, v26, v137
	v_fma_f16 v26, v77, -0.5, v26
	v_sub_f16_e32 v77, v71, v69
	v_fma_f16 v31, v81, v46, -v31
	v_mul_f16_sdwa v37, v81, v46 dst_sel:DWORD dst_unused:UNUSED_PAD src0_sel:DWORD src1_sel:WORD_1
	v_fma_f16 v81, v77, s13, v26
	v_fma_f16 v26, v77, s16, v26
	v_add_f16_e32 v77, v86, v71
	v_add_f16_e32 v77, v77, v69
	;; [unrolled: 1-line block ×3, first 2 shown]
	v_fma_f16 v69, v69, -0.5, v86
	v_sub_f16_e32 v71, v137, v109
	v_add_f16_e32 v86, v110, v112
	v_fma_f16 v37, v82, v46, v37
	v_fma_f16 v82, v71, s16, v69
	;; [unrolled: 1-line block ×3, first 2 shown]
	v_add_f16_e32 v71, v27, v110
	v_fma_f16 v27, v86, -0.5, v27
	v_sub_f16_e32 v86, v72, v70
	v_fma_f16 v137, v86, s13, v27
	v_fma_f16 v27, v86, s16, v27
	v_add_f16_e32 v86, v111, v72
	v_add_f16_e32 v86, v86, v70
	;; [unrolled: 1-line block ×4, first 2 shown]
	v_fma_f16 v70, v70, -0.5, v111
	v_sub_f16_e32 v72, v110, v112
	v_add_f16_e32 v109, v113, v116
	v_fma_f16 v110, v72, s16, v70
	v_fma_f16 v70, v72, s13, v70
	v_add_f16_e32 v72, v24, v113
	v_fma_f16 v24, v109, -0.5, v24
	v_sub_f16_e32 v109, v67, v65
	v_add_f16_e32 v71, v71, v112
	v_fma_f16 v112, v109, s13, v24
	v_fma_f16 v24, v109, s16, v24
	v_add_f16_e32 v109, v114, v67
	v_add_f16_e32 v141, v109, v65
	v_add_f16_e32 v65, v67, v65
	v_fma_f16 v65, v65, -0.5, v114
	v_sub_f16_e32 v67, v113, v116
	v_add_f16_e32 v109, v117, v68
	v_fma_f16 v113, v67, s16, v65
	v_fma_f16 v65, v67, s13, v65
	v_add_f16_e32 v67, v25, v117
	v_fma_f16 v25, v109, -0.5, v25
	v_sub_f16_e32 v109, v43, v66
	v_fma_f16 v114, v109, s13, v25
	v_fma_f16 v25, v109, s16, v25
	v_add_f16_e32 v109, v118, v43
	v_add_f16_e32 v43, v43, v66
	;; [unrolled: 1-line block ×4, first 2 shown]
	v_fma_f16 v43, v43, -0.5, v118
	v_sub_f16_e32 v66, v117, v68
	v_add_f16_e32 v67, v67, v68
	v_fma_f16 v68, v66, s16, v43
	v_fma_f16 v66, v66, s13, v43
	v_add_f16_e32 v43, v22, v124
	v_add_f16_e32 v117, v43, v126
	v_add_f16_e32 v43, v124, v126
	v_fma_f16 v22, v43, -0.5, v22
	v_sub_f16_e32 v43, v63, v38
	v_fma_f16 v142, v43, s13, v22
	v_fma_f16 v22, v43, s16, v22
	v_add_f16_e32 v43, v125, v63
	v_add_f16_e32 v143, v43, v38
	v_add_f16_e32 v38, v63, v38
	v_fma_f16 v38, v38, -0.5, v125
	v_sub_f16_e32 v43, v124, v126
	v_fma_f16 v63, v43, s16, v38
	v_fma_f16 v38, v43, s13, v38
	v_add_f16_e32 v43, v23, v127
	v_add_f16_e32 v124, v43, v129
	v_add_f16_e32 v43, v127, v129
	v_lshrrev_b32_e32 v128, 16, v23
	v_fma_f16 v23, v43, -0.5, v23
	v_sub_f16_e32 v43, v64, v39
	v_fma_f16 v125, v43, s13, v23
	v_fma_f16 v23, v43, s16, v23
	v_add_f16_e32 v43, v128, v64
	v_add_f16_e32 v126, v43, v39
	v_add_f16_e32 v39, v64, v39
	v_fma_f16 v39, v39, -0.5, v128
	v_sub_f16_e32 v43, v127, v129
	v_fma_f16 v127, v43, s16, v39
	v_fma_f16 v39, v43, s13, v39
	v_add_f16_e32 v43, v20, v130
	v_add_f16_e32 v128, v43, v138
	v_add_f16_e32 v43, v130, v138
	v_lshrrev_b32_e32 v131, 16, v20
	;; [unrolled: 15-line block ×3, first 2 shown]
	v_fma_f16 v21, v43, -0.5, v21
	v_sub_f16_e32 v43, v135, v136
	v_fma_f16 v133, v43, s13, v21
	v_fma_f16 v21, v43, s16, v21
	v_add_f16_e32 v43, v134, v135
	v_add_f16_e32 v138, v43, v136
	;; [unrolled: 1-line block ×3, first 2 shown]
	v_fma_f16 v43, v43, -0.5, v134
	v_sub_f16_e32 v64, v139, v140
	v_fma_f16 v134, v64, s16, v43
	v_fma_f16 v135, v64, s13, v43
	v_add_f16_e32 v43, v30, v31
	v_pack_b32_f16 v26, v26, v69
	v_fma_f16 v43, v43, -0.5, v79
	v_sub_f16_e32 v109, v36, v37
	s_barrier
	ds_write_b32 v87, v26 offset:520
	v_mov_b32_e32 v26, 0xc3
	v_cmp_lt_u16_e32 vcc, 25, v42
	v_fma_f16 v64, v109, s13, v43
	v_fma_f16 v43, v109, s16, v43
	v_add_f16_e32 v109, v36, v37
	v_cndmask_b32_e32 v26, 0, v26, vcc
	v_fma_f16 v109, v109, -0.5, v80
	v_sub_f16_e32 v111, v30, v31
	v_add_u32_e32 v26, v83, v26
	v_fma_f16 v118, v111, s16, v109
	v_fma_f16 v109, v111, s13, v109
	v_pack_b32_f16 v74, v74, v77
	v_pack_b32_f16 v77, v81, v82
	v_lshl_add_u32 v111, v26, 2, v101
	v_pack_b32_f16 v26, v71, v86
	v_pack_b32_f16 v69, v137, v110
	ds_write2_b32 v87, v74, v77 offset1:65
	ds_write2_b32 v111, v26, v69 offset1:65
	v_pack_b32_f16 v26, v27, v70
	v_pack_b32_f16 v24, v24, v65
	ds_write_b32 v111, v26 offset:520
	ds_write_b32 v87, v24 offset:1352
	v_mul_u32_u24_e32 v24, 0xc3, v84
	v_pack_b32_f16 v26, v72, v141
	v_pack_b32_f16 v27, v112, v113
	v_add_u32_sdwa v24, v24, v115 dst_sel:DWORD dst_unused:UNUSED_PAD src0_sel:DWORD src1_sel:BYTE_0
	ds_write2_b32 v78, v26, v27 offset0:80 offset1:145
	v_lshl_add_u32 v112, v24, 2, v101
	v_pack_b32_f16 v24, v67, v116
	v_pack_b32_f16 v26, v114, v68
	ds_write2_b32 v112, v24, v26 offset1:65
	v_pack_b32_f16 v24, v25, v66
	v_lshl_add_u32 v113, v119, 2, v101
	ds_write_b32 v112, v24 offset:520
	v_pack_b32_f16 v24, v117, v143
	v_pack_b32_f16 v25, v142, v63
	v_add_u32_e32 v26, 0x400, v113
	v_pack_b32_f16 v22, v22, v38
	v_lshl_add_u32 v114, v120, 2, v101
	ds_write2_b32 v26, v24, v25 offset0:134 offset1:199
	ds_write_b32 v113, v22 offset:2080
	v_pack_b32_f16 v22, v124, v126
	v_pack_b32_f16 v24, v125, v127
	v_add_u32_e32 v25, 0x800, v114
	s_movk_i32 s12, 0xc3
	ds_write2_b32 v25, v22, v24 offset0:73 offset1:138
	v_pack_b32_f16 v22, v23, v39
	ds_write_b32 v114, v22 offset:2860
	v_mad_legacy_u16 v22, v121, s12, v122
	v_lshl_add_u32 v115, v22, 2, v101
	v_pack_b32_f16 v22, v128, v144
	v_pack_b32_f16 v23, v129, v130
	;; [unrolled: 1-line block ×3, first 2 shown]
	v_lshl_add_u32 v116, v123, 2, v101
	ds_write2_b32 v115, v22, v23 offset1:65
	ds_write_b32 v115, v20 offset:520
	v_pack_b32_f16 v20, v132, v138
	v_pack_b32_f16 v22, v133, v134
	v_add_u32_e32 v23, 0xc00, v116
	ds_write2_b32 v23, v20, v22 offset0:12 offset1:77
	v_pack_b32_f16 v20, v21, v135
	v_lshl_add_u32 v110, v85, 2, v101
	ds_write_b32 v116, v20 offset:3640
	s_and_saveexec_b64 s[12:13], s[2:3]
	s_cbranch_execz .LBB0_11
; %bb.10:
	v_add_f16_e32 v20, v80, v36
	v_add_f16_e32 v21, v79, v30
	;; [unrolled: 1-line block ×4, first 2 shown]
	s_mov_b32 s16, 0x5040100
	v_pack_b32_f16 v20, v21, v20
	v_perm_b32 v21, v118, v64, s16
	v_add_u32_e32 v22, 0xc00, v110
	ds_write2_b32 v22, v20, v21 offset0:12 offset1:77
	v_perm_b32 v20, v109, v43, s16
	ds_write_b32 v110, v20 offset:3640
.LBB0_11:
	s_or_b64 exec, exec, s[12:13]
	v_lshlrev_b32_e32 v20, 4, v42
	s_waitcnt lgkmcnt(0)
	s_barrier
	global_load_dwordx4 v[20:23], v20, s[4:5] offset:728
	v_lshlrev_b32_e32 v24, 4, v73
	global_load_dwordx4 v[24:27], v24, s[4:5] offset:728
	v_lshlrev_b64 v[28:29], 4, v[28:29]
	v_mov_b32_e32 v63, s5
	v_add_co_u32_e32 v28, vcc, s4, v28
	v_addc_co_u32_e32 v29, vcc, v63, v29, vcc
	ds_read2_b32 v[65:66], v87 offset1:39
	ds_read2_b32 v[73:74], v87 offset0:156 offset1:195
	global_load_dwordx4 v[28:31], v[28:29], off offset:728
	v_lshlrev_b64 v[32:33], 4, v[32:33]
	v_add_u32_e32 v77, 0x400, v87
	v_add_co_u32_e32 v32, vcc, s4, v32
	v_addc_co_u32_e32 v33, vcc, v63, v33, vcc
	v_add_u32_e32 v81, 0x800, v87
	v_add_u32_e32 v78, 0xc00, v87
	;; [unrolled: 1-line block ×3, first 2 shown]
	ds_read2_b32 v[67:68], v87 offset0:78 offset1:117
	ds_read_b32 v80, v87 offset:3744
	ds_read2_b32 v[69:70], v77 offset0:134 offset1:173
	ds_read2_b32 v[71:72], v81 offset0:34 offset1:73
	;; [unrolled: 1-line block ×8, first 2 shown]
	global_load_dwordx4 v[36:39], v[32:33], off offset:728
	v_lshlrev_b64 v[34:35], 4, v[34:35]
	s_waitcnt lgkmcnt(10)
	v_lshrrev_b32_e32 v86, 16, v74
	v_add_co_u32_e32 v32, vcc, s4, v34
	v_addc_co_u32_e32 v33, vcc, v63, v35, vcc
	global_load_dwordx4 v[32:35], v[32:33], off offset:728
	s_waitcnt lgkmcnt(4)
	v_lshrrev_b32_e32 v136, 16, v84
	v_lshrrev_b32_e32 v137, 16, v70
	s_waitcnt lgkmcnt(3)
	v_lshrrev_b32_e32 v138, 16, v119
	v_lshrrev_b32_e32 v139, 16, v83
	;; [unrolled: 1-line block ×3, first 2 shown]
	s_waitcnt lgkmcnt(2)
	v_lshrrev_b32_e32 v141, 16, v121
	v_lshrrev_b32_e32 v142, 16, v120
	s_waitcnt lgkmcnt(1)
	v_lshrrev_b32_e32 v143, 16, v123
	ds_read2_b32 v[127:128], v81 offset0:190 offset1:229
	v_lshrrev_b32_e32 v133, 16, v69
	s_waitcnt lgkmcnt(1)
	v_lshrrev_b32_e32 v144, 16, v125
	v_lshrrev_b32_e32 v145, 16, v122
	;; [unrolled: 1-line block ×3, first 2 shown]
	s_waitcnt lgkmcnt(0)
	v_lshrrev_b32_e32 v146, 16, v127
	v_lshrrev_b32_e32 v134, 16, v72
	;; [unrolled: 1-line block ×7, first 2 shown]
	s_movk_i32 s5, 0x3b9c
	s_mov_b32 s13, 0xbb9c
	s_mov_b32 s16, 0xb8b4
	s_movk_i32 s12, 0x34f2
	s_movk_i32 s4, 0x38b4
	v_lshrrev_b32_e32 v63, 16, v65
	v_lshrrev_b32_e32 v117, 16, v66
	;; [unrolled: 1-line block ×5, first 2 shown]
	s_waitcnt vmcnt(4)
	v_mul_f16_sdwa v151, v86, v20 dst_sel:DWORD dst_unused:UNUSED_PAD src0_sel:DWORD src1_sel:WORD_1
	v_mul_f16_sdwa v152, v74, v20 dst_sel:DWORD dst_unused:UNUSED_PAD src0_sel:DWORD src1_sel:WORD_1
	v_fma_f16 v74, v74, v20, -v151
	s_waitcnt vmcnt(3)
	v_mul_f16_sdwa v151, v136, v24 dst_sel:DWORD dst_unused:UNUSED_PAD src0_sel:DWORD src1_sel:WORD_1
	v_fma_f16 v151, v84, v24, -v151
	v_mul_f16_sdwa v84, v84, v24 dst_sel:DWORD dst_unused:UNUSED_PAD src0_sel:DWORD src1_sel:WORD_1
	v_fma_f16 v84, v136, v24, v84
	v_mul_f16_sdwa v136, v137, v25 dst_sel:DWORD dst_unused:UNUSED_PAD src0_sel:DWORD src1_sel:WORD_1
	v_fma_f16 v136, v70, v25, -v136
	v_mul_f16_sdwa v70, v70, v25 dst_sel:DWORD dst_unused:UNUSED_PAD src0_sel:DWORD src1_sel:WORD_1
	v_fma_f16 v70, v137, v25, v70
	;; [unrolled: 4-line block ×4, first 2 shown]
	s_waitcnt vmcnt(2)
	v_mul_f16_sdwa v139, v140, v28 dst_sel:DWORD dst_unused:UNUSED_PAD src0_sel:DWORD src1_sel:WORD_1
	v_fma_f16 v139, v85, v28, -v139
	v_mul_f16_sdwa v85, v85, v28 dst_sel:DWORD dst_unused:UNUSED_PAD src0_sel:DWORD src1_sel:WORD_1
	v_fma_f16 v85, v140, v28, v85
	v_mul_f16_sdwa v140, v141, v29 dst_sel:DWORD dst_unused:UNUSED_PAD src0_sel:DWORD src1_sel:WORD_1
	v_fma_f16 v140, v121, v29, -v140
	v_mul_f16_sdwa v121, v121, v29 dst_sel:DWORD dst_unused:UNUSED_PAD src0_sel:DWORD src1_sel:WORD_1
	v_fma_f16 v141, v141, v29, v121
	v_mul_f16_sdwa v121, v142, v30 dst_sel:DWORD dst_unused:UNUSED_PAD src0_sel:DWORD src1_sel:WORD_1
	v_fma_f16 v86, v86, v20, v152
	v_fma_f16 v152, v120, v30, -v121
	v_mul_f16_sdwa v120, v120, v30 dst_sel:DWORD dst_unused:UNUSED_PAD src0_sel:DWORD src1_sel:WORD_1
	v_mul_f16_sdwa v121, v143, v31 dst_sel:DWORD dst_unused:UNUSED_PAD src0_sel:DWORD src1_sel:WORD_1
	v_fma_f16 v120, v142, v30, v120
	v_fma_f16 v142, v123, v31, -v121
	v_mul_f16_sdwa v121, v123, v31 dst_sel:DWORD dst_unused:UNUSED_PAD src0_sel:DWORD src1_sel:WORD_1
	v_mul_f16_sdwa v153, v133, v21 dst_sel:DWORD dst_unused:UNUSED_PAD src0_sel:DWORD src1_sel:WORD_1
	v_fma_f16 v143, v143, v31, v121
	s_waitcnt vmcnt(1)
	v_mul_f16_sdwa v121, v144, v36 dst_sel:DWORD dst_unused:UNUSED_PAD src0_sel:DWORD src1_sel:WORD_1
	v_mul_f16_sdwa v154, v69, v21 dst_sel:DWORD dst_unused:UNUSED_PAD src0_sel:DWORD src1_sel:WORD_1
	v_fma_f16 v69, v69, v21, -v153
	v_fma_f16 v153, v125, v36, -v121
	v_mul_f16_sdwa v121, v125, v36 dst_sel:DWORD dst_unused:UNUSED_PAD src0_sel:DWORD src1_sel:WORD_1
	v_fma_f16 v144, v144, v36, v121
	v_mul_f16_sdwa v121, v145, v37 dst_sel:DWORD dst_unused:UNUSED_PAD src0_sel:DWORD src1_sel:WORD_1
	v_fma_f16 v125, v122, v37, -v121
	v_mul_f16_sdwa v121, v122, v37 dst_sel:DWORD dst_unused:UNUSED_PAD src0_sel:DWORD src1_sel:WORD_1
	v_fma_f16 v145, v145, v37, v121
	v_mul_f16_sdwa v121, v146, v38 dst_sel:DWORD dst_unused:UNUSED_PAD src0_sel:DWORD src1_sel:WORD_1
	v_fma_f16 v133, v133, v21, v154
	v_fma_f16 v154, v127, v38, -v121
	v_mul_f16_sdwa v121, v127, v38 dst_sel:DWORD dst_unused:UNUSED_PAD src0_sel:DWORD src1_sel:WORD_1
	v_fma_f16 v127, v146, v38, v121
	v_mul_f16_sdwa v121, v147, v39 dst_sel:DWORD dst_unused:UNUSED_PAD src0_sel:DWORD src1_sel:WORD_1
	v_fma_f16 v146, v124, v39, -v121
	v_mul_f16_sdwa v121, v124, v39 dst_sel:DWORD dst_unused:UNUSED_PAD src0_sel:DWORD src1_sel:WORD_1
	v_mul_f16_sdwa v155, v134, v22 dst_sel:DWORD dst_unused:UNUSED_PAD src0_sel:DWORD src1_sel:WORD_1
	v_fma_f16 v147, v147, v39, v121
	s_waitcnt vmcnt(0)
	v_mul_f16_sdwa v121, v148, v32 dst_sel:DWORD dst_unused:UNUSED_PAD src0_sel:DWORD src1_sel:WORD_1
	v_mul_f16_sdwa v156, v72, v22 dst_sel:DWORD dst_unused:UNUSED_PAD src0_sel:DWORD src1_sel:WORD_1
	v_fma_f16 v72, v72, v22, -v155
	v_fma_f16 v155, v126, v32, -v121
	v_mul_f16_sdwa v121, v126, v32 dst_sel:DWORD dst_unused:UNUSED_PAD src0_sel:DWORD src1_sel:WORD_1
	v_fma_f16 v148, v148, v32, v121
	v_mul_f16_sdwa v121, v149, v33 dst_sel:DWORD dst_unused:UNUSED_PAD src0_sel:DWORD src1_sel:WORD_1
	v_fma_f16 v134, v134, v22, v156
	v_fma_f16 v156, v71, v33, -v121
	v_mul_f16_sdwa v71, v71, v33 dst_sel:DWORD dst_unused:UNUSED_PAD src0_sel:DWORD src1_sel:WORD_1
	v_mul_f16_sdwa v157, v135, v23 dst_sel:DWORD dst_unused:UNUSED_PAD src0_sel:DWORD src1_sel:WORD_1
	v_fma_f16 v149, v149, v33, v71
	v_mul_f16_sdwa v71, v150, v34 dst_sel:DWORD dst_unused:UNUSED_PAD src0_sel:DWORD src1_sel:WORD_1
	v_mul_f16_sdwa v158, v82, v23 dst_sel:DWORD dst_unused:UNUSED_PAD src0_sel:DWORD src1_sel:WORD_1
	v_fma_f16 v82, v82, v23, -v157
	v_fma_f16 v157, v128, v34, -v71
	v_mul_f16_sdwa v71, v128, v34 dst_sel:DWORD dst_unused:UNUSED_PAD src0_sel:DWORD src1_sel:WORD_1
	v_fma_f16 v150, v150, v34, v71
	v_mul_f16_sdwa v71, v131, v35 dst_sel:DWORD dst_unused:UNUSED_PAD src0_sel:DWORD src1_sel:WORD_1
	v_fma_f16 v135, v135, v23, v158
	v_fma_f16 v158, v80, v35, -v71
	v_mul_f16_sdwa v71, v80, v35 dst_sel:DWORD dst_unused:UNUSED_PAD src0_sel:DWORD src1_sel:WORD_1
	v_fma_f16 v80, v131, v35, v71
	v_add_f16_e32 v71, v65, v74
	v_add_f16_e32 v71, v71, v69
	v_add_f16_e32 v71, v71, v72
	v_add_f16_e32 v159, v71, v82
	v_add_f16_e32 v71, v69, v72
	v_fma_f16 v71, v71, -0.5, v65
	v_sub_f16_e32 v121, v86, v135
	v_fma_f16 v122, v121, s5, v71
	v_sub_f16_e32 v123, v133, v134
	v_sub_f16_e32 v124, v74, v69
	;; [unrolled: 1-line block ×3, first 2 shown]
	v_fma_f16 v71, v121, s13, v71
	v_add_f16_e32 v124, v124, v126
	v_fma_f16 v71, v123, s16, v71
	v_fma_f16 v161, v124, s12, v71
	v_add_f16_e32 v71, v74, v82
	v_fma_f16 v122, v123, s4, v122
	v_fma_f16 v65, v71, -0.5, v65
	v_fma_f16 v160, v124, s12, v122
	v_fma_f16 v71, v123, s13, v65
	v_sub_f16_e32 v122, v69, v74
	v_sub_f16_e32 v124, v72, v82
	v_fma_f16 v65, v123, s5, v65
	v_add_f16_e32 v122, v122, v124
	v_fma_f16 v65, v121, s16, v65
	v_fma_f16 v163, v122, s12, v65
	v_add_f16_e32 v65, v63, v86
	v_add_f16_e32 v65, v65, v133
	;; [unrolled: 1-line block ×3, first 2 shown]
	v_fma_f16 v71, v121, s4, v71
	v_add_f16_e32 v164, v65, v135
	v_add_f16_e32 v65, v133, v134
	v_fma_f16 v162, v122, s12, v71
	v_fma_f16 v65, v65, -0.5, v63
	v_sub_f16_e32 v71, v74, v82
	v_fma_f16 v74, v71, s13, v65
	v_sub_f16_e32 v69, v69, v72
	v_fma_f16 v72, v69, s16, v74
	v_sub_f16_e32 v74, v86, v133
	v_sub_f16_e32 v82, v135, v134
	v_fma_f16 v65, v71, s5, v65
	v_add_f16_e32 v74, v74, v82
	v_fma_f16 v65, v69, s4, v65
	v_fma_f16 v165, v74, s12, v65
	v_add_f16_e32 v65, v86, v135
	v_fma_f16 v63, v65, -0.5, v63
	v_fma_f16 v82, v74, s12, v72
	v_fma_f16 v65, v69, s5, v63
	v_sub_f16_e32 v72, v133, v86
	v_sub_f16_e32 v74, v134, v135
	v_fma_f16 v63, v69, s13, v63
	v_add_f16_e32 v72, v72, v74
	v_fma_f16 v63, v71, s4, v63
	v_fma_f16 v134, v72, s12, v63
	v_add_f16_e32 v63, v66, v151
	v_add_f16_e32 v63, v63, v136
	;; [unrolled: 1-line block ×3, first 2 shown]
	v_fma_f16 v65, v71, s16, v65
	v_add_f16_e32 v135, v63, v138
	v_add_f16_e32 v63, v136, v137
	v_fma_f16 v86, v72, s12, v65
	v_fma_f16 v63, v63, -0.5, v66
	v_sub_f16_e32 v65, v84, v83
	v_fma_f16 v69, v65, s5, v63
	v_sub_f16_e32 v71, v70, v119
	v_sub_f16_e32 v72, v151, v136
	;; [unrolled: 1-line block ×3, first 2 shown]
	v_fma_f16 v63, v65, s13, v63
	v_add_f16_e32 v72, v72, v74
	v_fma_f16 v63, v71, s16, v63
	v_fma_f16 v167, v72, s12, v63
	v_add_f16_e32 v63, v151, v138
	v_fma_f16 v69, v71, s4, v69
	v_fma_f16 v63, v63, -0.5, v66
	v_fma_f16 v166, v72, s12, v69
	v_fma_f16 v66, v71, s13, v63
	v_sub_f16_e32 v69, v136, v151
	v_sub_f16_e32 v72, v137, v138
	v_fma_f16 v63, v71, s5, v63
	v_add_f16_e32 v69, v69, v72
	v_fma_f16 v63, v65, s16, v63
	v_fma_f16 v169, v69, s12, v63
	v_add_f16_e32 v63, v117, v84
	v_add_f16_e32 v63, v63, v70
	;; [unrolled: 1-line block ×5, first 2 shown]
	v_fma_f16 v66, v65, s4, v66
	v_fma_f16 v63, v63, -0.5, v117
	v_sub_f16_e32 v65, v151, v138
	v_fma_f16 v168, v69, s12, v66
	v_fma_f16 v66, v65, s13, v63
	v_sub_f16_e32 v69, v136, v137
	v_sub_f16_e32 v71, v84, v70
	;; [unrolled: 1-line block ×3, first 2 shown]
	v_fma_f16 v63, v65, s5, v63
	v_add_f16_e32 v71, v71, v72
	v_fma_f16 v63, v69, s4, v63
	v_fma_f16 v137, v71, s12, v63
	v_add_f16_e32 v63, v84, v83
	v_fma_f16 v66, v69, s16, v66
	v_fma_f16 v63, v63, -0.5, v117
	v_fma_f16 v136, v71, s12, v66
	v_fma_f16 v66, v69, s5, v63
	v_sub_f16_e32 v70, v70, v84
	v_sub_f16_e32 v71, v119, v83
	v_fma_f16 v63, v69, s13, v63
	v_add_f16_e32 v70, v70, v71
	v_fma_f16 v63, v65, s4, v63
	v_fma_f16 v84, v70, s12, v63
	v_add_f16_e32 v63, v67, v139
	v_add_f16_e32 v63, v63, v140
	;; [unrolled: 1-line block ×3, first 2 shown]
	v_fma_f16 v66, v65, s16, v66
	v_add_f16_e32 v117, v63, v142
	v_add_f16_e32 v63, v140, v152
	v_fma_f16 v83, v70, s12, v66
	v_fma_f16 v63, v63, -0.5, v67
	v_sub_f16_e32 v66, v85, v143
	v_fma_f16 v65, v66, s5, v63
	v_sub_f16_e32 v69, v141, v120
	v_sub_f16_e32 v70, v139, v140
	;; [unrolled: 1-line block ×3, first 2 shown]
	v_fma_f16 v63, v66, s13, v63
	v_fma_f16 v65, v69, s4, v65
	v_add_f16_e32 v70, v70, v71
	v_fma_f16 v63, v69, s16, v63
	v_fma_f16 v119, v70, s12, v65
	;; [unrolled: 1-line block ×3, first 2 shown]
	v_add_f16_e32 v63, v139, v142
	v_fma_f16 v63, v63, -0.5, v67
	v_fma_f16 v67, v69, s13, v63
	v_sub_f16_e32 v70, v140, v139
	v_sub_f16_e32 v71, v152, v142
	v_fma_f16 v63, v69, s5, v63
	v_add_f16_e32 v70, v70, v71
	v_fma_f16 v63, v66, s16, v63
	v_fma_f16 v121, v70, s12, v63
	v_add_f16_e32 v63, v129, v85
	v_add_f16_e32 v63, v63, v141
	;; [unrolled: 1-line block ×5, first 2 shown]
	v_fma_f16 v67, v66, s4, v67
	v_fma_f16 v63, v63, -0.5, v129
	v_sub_f16_e32 v66, v139, v142
	v_fma_f16 v138, v70, s12, v67
	v_fma_f16 v67, v66, s13, v63
	v_sub_f16_e32 v69, v140, v152
	v_sub_f16_e32 v70, v85, v141
	;; [unrolled: 1-line block ×3, first 2 shown]
	v_fma_f16 v63, v66, s5, v63
	v_add_f16_e32 v70, v70, v71
	v_fma_f16 v63, v69, s4, v63
	v_fma_f16 v123, v70, s12, v63
	v_add_f16_e32 v63, v85, v143
	v_fma_f16 v67, v69, s16, v67
	v_fma_f16 v63, v63, -0.5, v129
	v_fma_f16 v139, v70, s12, v67
	v_fma_f16 v67, v69, s5, v63
	v_sub_f16_e32 v70, v141, v85
	v_sub_f16_e32 v71, v120, v143
	v_fma_f16 v63, v69, s13, v63
	v_add_f16_e32 v70, v70, v71
	v_fma_f16 v63, v66, s4, v63
	v_fma_f16 v122, v70, s12, v63
	v_add_f16_e32 v63, v68, v153
	v_add_f16_e32 v63, v63, v125
	;; [unrolled: 1-line block ×3, first 2 shown]
	v_fma_f16 v67, v66, s16, v67
	v_add_f16_e32 v66, v63, v146
	v_add_f16_e32 v63, v125, v154
	v_fma_f16 v63, v63, -0.5, v68
	v_sub_f16_e32 v69, v144, v147
	v_fma_f16 v85, v70, s12, v67
	v_fma_f16 v67, v69, s5, v63
	v_sub_f16_e32 v71, v145, v127
	v_sub_f16_e32 v70, v153, v125
	v_sub_f16_e32 v72, v146, v154
	v_fma_f16 v63, v69, s13, v63
	v_fma_f16 v67, v71, s4, v67
	v_add_f16_e32 v70, v70, v72
	v_fma_f16 v63, v71, s16, v63
	v_fma_f16 v67, v70, s12, v67
	;; [unrolled: 1-line block ×3, first 2 shown]
	v_add_f16_e32 v63, v153, v146
	v_fma_f16 v63, v63, -0.5, v68
	v_fma_f16 v68, v71, s13, v63
	v_sub_f16_e32 v72, v125, v153
	v_sub_f16_e32 v74, v154, v146
	v_fma_f16 v63, v71, s5, v63
	v_add_f16_e32 v72, v72, v74
	v_fma_f16 v63, v69, s16, v63
	v_fma_f16 v68, v69, s4, v68
	;; [unrolled: 1-line block ×3, first 2 shown]
	v_add_f16_e32 v63, v130, v144
	v_add_f16_e32 v63, v63, v145
	;; [unrolled: 1-line block ×5, first 2 shown]
	v_fma_f16 v63, v63, -0.5, v130
	v_sub_f16_e32 v71, v153, v146
	v_fma_f16 v68, v72, s12, v68
	v_fma_f16 v72, v71, s13, v63
	v_sub_f16_e32 v74, v125, v154
	v_sub_f16_e32 v120, v144, v145
	;; [unrolled: 1-line block ×3, first 2 shown]
	v_fma_f16 v63, v71, s5, v63
	v_add_f16_e32 v120, v120, v125
	v_fma_f16 v63, v74, s4, v63
	v_fma_f16 v126, v120, s12, v63
	v_add_f16_e32 v63, v144, v147
	v_fma_f16 v72, v74, s16, v72
	v_fma_f16 v63, v63, -0.5, v130
	v_fma_f16 v125, v120, s12, v72
	v_fma_f16 v72, v74, s5, v63
	v_sub_f16_e32 v120, v145, v144
	v_sub_f16_e32 v127, v127, v147
	v_fma_f16 v63, v74, s13, v63
	v_add_f16_e32 v120, v120, v127
	v_fma_f16 v63, v71, s4, v63
	v_fma_f16 v128, v120, s12, v63
	v_add_f16_e32 v63, v73, v155
	v_add_f16_e32 v63, v63, v156
	;; [unrolled: 1-line block ×3, first 2 shown]
	v_fma_f16 v72, v71, s16, v72
	v_add_f16_e32 v71, v63, v158
	v_add_f16_e32 v63, v156, v157
	v_fma_f16 v63, v63, -0.5, v73
	v_sub_f16_e32 v74, v148, v80
	v_fma_f16 v127, v120, s12, v72
	v_fma_f16 v72, v74, s5, v63
	v_sub_f16_e32 v120, v149, v150
	v_sub_f16_e32 v129, v155, v156
	;; [unrolled: 1-line block ×3, first 2 shown]
	v_fma_f16 v63, v74, s13, v63
	v_fma_f16 v72, v120, s4, v72
	v_add_f16_e32 v129, v129, v130
	v_fma_f16 v63, v120, s16, v63
	v_fma_f16 v72, v129, s12, v72
	;; [unrolled: 1-line block ×3, first 2 shown]
	v_add_f16_e32 v129, v155, v158
	v_fma_f16 v129, v129, -0.5, v73
	v_fma_f16 v73, v120, s13, v129
	v_fma_f16 v120, v120, s5, v129
	;; [unrolled: 1-line block ×4, first 2 shown]
	v_add_f16_e32 v120, v132, v148
	v_add_f16_e32 v120, v120, v149
	;; [unrolled: 1-line block ×3, first 2 shown]
	v_sub_f16_e32 v130, v156, v155
	v_sub_f16_e32 v131, v157, v158
	v_add_f16_e32 v129, v120, v80
	v_add_f16_e32 v120, v149, v150
	;; [unrolled: 1-line block ×3, first 2 shown]
	v_fma_f16 v120, v120, -0.5, v132
	v_sub_f16_e32 v133, v155, v158
	v_fma_f16 v73, v130, s12, v73
	v_fma_f16 v74, v130, s12, v74
	;; [unrolled: 1-line block ×3, first 2 shown]
	v_sub_f16_e32 v140, v156, v157
	v_sub_f16_e32 v131, v148, v149
	;; [unrolled: 1-line block ×3, first 2 shown]
	v_fma_f16 v120, v133, s5, v120
	v_fma_f16 v130, v140, s16, v130
	v_add_f16_e32 v131, v131, v141
	v_fma_f16 v120, v140, s4, v120
	v_fma_f16 v130, v131, s12, v130
	;; [unrolled: 1-line block ×3, first 2 shown]
	v_add_f16_e32 v120, v148, v80
	v_pack_b32_f16 v82, v160, v82
	v_fma_f16 v120, v120, -0.5, v132
	ds_write_b32 v87, v82 offset:780
	v_pack_b32_f16 v82, v162, v86
	v_fma_f16 v132, v140, s5, v120
	v_sub_f16_e32 v141, v149, v148
	v_sub_f16_e32 v80, v150, v80
	v_fma_f16 v120, v140, s13, v120
	ds_write_b32 v87, v82 offset:1560
	v_pack_b32_f16 v82, v163, v134
	v_fma_f16 v132, v133, s16, v132
	v_add_f16_e32 v80, v141, v80
	v_fma_f16 v120, v133, s4, v120
	ds_write_b32 v87, v82 offset:2340
	v_pack_b32_f16 v82, v161, v165
	v_fma_f16 v132, v80, s12, v132
	v_fma_f16 v133, v80, s12, v120
	v_pack_b32_f16 v80, v159, v164
	ds_write_b32 v87, v82 offset:3120
	v_pack_b32_f16 v82, v135, v170
	ds_write2_b32 v87, v80, v82 offset1:39
	v_pack_b32_f16 v80, v166, v136
	ds_write_b32 v87, v80 offset:936
	v_pack_b32_f16 v80, v168, v83
	ds_write_b32 v87, v80 offset:1716
	;; [unrolled: 2-line block ×4, first 2 shown]
	v_pack_b32_f16 v80, v117, v151
	v_lshl_add_u32 v117, v76, 2, v75
	v_pack_b32_f16 v82, v138, v85
	v_pack_b32_f16 v85, v66, v124
	;; [unrolled: 1-line block ×3, first 2 shown]
	ds_write2_b32 v87, v80, v85 offset0:78 offset1:117
	v_pack_b32_f16 v80, v67, v125
	v_add_u32_e32 v85, 0x400, v117
	v_pack_b32_f16 v83, v121, v122
	ds_write2_b32 v85, v76, v80 offset0:17 offset1:56
	v_pack_b32_f16 v80, v69, v128
	v_add_u32_e32 v86, 0x800, v117
	ds_write2_b32 v86, v83, v80 offset0:151 offset1:190
	v_pack_b32_f16 v83, v71, v129
	ds_write_b32 v87, v83 offset:624
	v_pack_b32_f16 v83, v72, v130
	v_pack_b32_f16 v76, v68, v127
	ds_write2_b32 v85, v83, v82 offset0:95 offset1:212
	v_pack_b32_f16 v82, v73, v132
	v_add_u32_e32 v83, 0x600, v117
	v_pack_b32_f16 v84, v65, v123
	ds_write2_b32 v83, v76, v82 offset0:123 offset1:162
	v_pack_b32_f16 v76, v74, v133
	v_add_u32_e32 v82, 0xa00, v117
	;; [unrolled: 4-line block ×3, first 2 shown]
	ds_write2_b32 v82, v80, v76 offset0:129 offset1:168
	s_waitcnt lgkmcnt(0)
	s_barrier
	global_load_dword v76, v[40:41], off offset:3900
	s_add_u32 s12, s14, 0xf3c
	s_addc_u32 s13, s15, 0
	global_load_dword v80, v75, s[12:13] offset:300
	global_load_dword v86, v75, s[12:13] offset:600
	;; [unrolled: 1-line block ×12, first 2 shown]
	ds_read2_b32 v[82:83], v87 offset1:75
	s_waitcnt lgkmcnt(0)
	v_lshrrev_b32_e32 v84, 16, v82
	s_waitcnt vmcnt(12)
	v_mul_f16_sdwa v85, v84, v76 dst_sel:DWORD dst_unused:UNUSED_PAD src0_sel:DWORD src1_sel:WORD_1
	v_fma_f16 v85, v82, v76, -v85
	v_mul_f16_sdwa v82, v82, v76 dst_sel:DWORD dst_unused:UNUSED_PAD src0_sel:DWORD src1_sel:WORD_1
	v_fma_f16 v76, v84, v76, v82
	v_lshrrev_b32_e32 v82, 16, v83
	s_waitcnt vmcnt(11)
	v_mul_f16_sdwa v84, v82, v80 dst_sel:DWORD dst_unused:UNUSED_PAD src0_sel:DWORD src1_sel:WORD_1
	v_pack_b32_f16 v76, v85, v76
	v_fma_f16 v142, v83, v80, -v84
	ds_read2_b32 v[84:85], v87 offset0:150 offset1:225
	v_mul_f16_sdwa v83, v83, v80 dst_sel:DWORD dst_unused:UNUSED_PAD src0_sel:DWORD src1_sel:WORD_1
	v_fma_f16 v80, v82, v80, v83
	v_pack_b32_f16 v80, v142, v80
	ds_write2_b32 v87, v76, v80 offset1:75
	s_waitcnt lgkmcnt(1)
	v_lshrrev_b32_e32 v76, 16, v84
	s_waitcnt vmcnt(10)
	v_mul_f16_sdwa v80, v76, v86 dst_sel:DWORD dst_unused:UNUSED_PAD src0_sel:DWORD src1_sel:WORD_1
	v_mul_f16_sdwa v82, v84, v86 dst_sel:DWORD dst_unused:UNUSED_PAD src0_sel:DWORD src1_sel:WORD_1
	v_fma_f16 v80, v84, v86, -v80
	v_fma_f16 v76, v76, v86, v82
	v_pack_b32_f16 v76, v80, v76
	v_lshrrev_b32_e32 v80, 16, v85
	s_waitcnt vmcnt(9)
	v_mul_f16_sdwa v82, v80, v119 dst_sel:DWORD dst_unused:UNUSED_PAD src0_sel:DWORD src1_sel:WORD_1
	v_fma_f16 v84, v85, v119, -v82
	ds_read2_b32 v[82:83], v77 offset0:44 offset1:119
	v_mul_f16_sdwa v85, v85, v119 dst_sel:DWORD dst_unused:UNUSED_PAD src0_sel:DWORD src1_sel:WORD_1
	v_fma_f16 v80, v80, v119, v85
	v_pack_b32_f16 v80, v84, v80
	ds_write2_b32 v87, v76, v80 offset0:150 offset1:225
	s_waitcnt lgkmcnt(1)
	v_lshrrev_b32_e32 v76, 16, v82
	s_waitcnt vmcnt(8)
	v_mul_f16_sdwa v80, v76, v120 dst_sel:DWORD dst_unused:UNUSED_PAD src0_sel:DWORD src1_sel:WORD_1
	v_fma_f16 v80, v82, v120, -v80
	v_mul_f16_sdwa v82, v82, v120 dst_sel:DWORD dst_unused:UNUSED_PAD src0_sel:DWORD src1_sel:WORD_1
	v_fma_f16 v76, v76, v120, v82
	v_pack_b32_f16 v76, v80, v76
	v_lshrrev_b32_e32 v80, 16, v83
	s_waitcnt vmcnt(7)
	v_mul_f16_sdwa v82, v80, v134 dst_sel:DWORD dst_unused:UNUSED_PAD src0_sel:DWORD src1_sel:WORD_1
	v_fma_f16 v86, v83, v134, -v82
	v_add_u32_e32 v82, 0x600, v87
	ds_read2_b32 v[84:85], v82 offset0:66 offset1:141
	v_mul_f16_sdwa v83, v83, v134 dst_sel:DWORD dst_unused:UNUSED_PAD src0_sel:DWORD src1_sel:WORD_1
	v_fma_f16 v80, v80, v134, v83
	v_pack_b32_f16 v80, v86, v80
	ds_write2_b32 v77, v76, v80 offset0:44 offset1:119
	s_waitcnt lgkmcnt(1)
	v_lshrrev_b32_e32 v76, 16, v84
	s_waitcnt vmcnt(6)
	v_mul_f16_sdwa v80, v76, v135 dst_sel:DWORD dst_unused:UNUSED_PAD src0_sel:DWORD src1_sel:WORD_1
	v_mul_f16_sdwa v83, v84, v135 dst_sel:DWORD dst_unused:UNUSED_PAD src0_sel:DWORD src1_sel:WORD_1
	v_fma_f16 v80, v84, v135, -v80
	v_fma_f16 v76, v76, v135, v83
	v_pack_b32_f16 v76, v80, v76
	v_lshrrev_b32_e32 v80, 16, v85
	s_waitcnt vmcnt(5)
	v_mul_f16_sdwa v83, v80, v136 dst_sel:DWORD dst_unused:UNUSED_PAD src0_sel:DWORD src1_sel:WORD_1
	v_fma_f16 v86, v85, v136, -v83
	ds_read2_b32 v[83:84], v81 offset0:88 offset1:163
	v_mul_f16_sdwa v85, v85, v136 dst_sel:DWORD dst_unused:UNUSED_PAD src0_sel:DWORD src1_sel:WORD_1
	v_fma_f16 v80, v80, v136, v85
	v_pack_b32_f16 v80, v86, v80
	ds_write2_b32 v82, v76, v80 offset0:66 offset1:141
	s_waitcnt lgkmcnt(1)
	v_lshrrev_b32_e32 v76, 16, v83
	s_waitcnt vmcnt(4)
	v_mul_f16_sdwa v80, v76, v137 dst_sel:DWORD dst_unused:UNUSED_PAD src0_sel:DWORD src1_sel:WORD_1
	v_fma_f16 v80, v83, v137, -v80
	v_mul_f16_sdwa v83, v83, v137 dst_sel:DWORD dst_unused:UNUSED_PAD src0_sel:DWORD src1_sel:WORD_1
	v_fma_f16 v76, v76, v137, v83
	v_add_u32_e32 v85, 0xa00, v87
	v_pack_b32_f16 v76, v80, v76
	v_lshrrev_b32_e32 v80, 16, v84
	ds_read2_b32 v[119:120], v85 offset0:110 offset1:185
	s_waitcnt vmcnt(3)
	v_mul_f16_sdwa v83, v80, v138 dst_sel:DWORD dst_unused:UNUSED_PAD src0_sel:DWORD src1_sel:WORD_1
	v_fma_f16 v83, v84, v138, -v83
	v_mul_f16_sdwa v84, v84, v138 dst_sel:DWORD dst_unused:UNUSED_PAD src0_sel:DWORD src1_sel:WORD_1
	v_fma_f16 v80, v80, v138, v84
	v_pack_b32_f16 v80, v83, v80
	ds_write2_b32 v81, v76, v80 offset0:88 offset1:163
	s_waitcnt lgkmcnt(1)
	v_lshrrev_b32_e32 v76, 16, v119
	s_waitcnt vmcnt(2)
	v_mul_f16_sdwa v80, v76, v139 dst_sel:DWORD dst_unused:UNUSED_PAD src0_sel:DWORD src1_sel:WORD_1
	v_mul_f16_sdwa v83, v119, v139 dst_sel:DWORD dst_unused:UNUSED_PAD src0_sel:DWORD src1_sel:WORD_1
	v_fma_f16 v80, v119, v139, -v80
	v_fma_f16 v76, v76, v139, v83
	ds_read_b32 v84, v87 offset:3600
	v_pack_b32_f16 v76, v80, v76
	v_lshrrev_b32_e32 v80, 16, v120
	s_waitcnt vmcnt(1)
	v_mul_f16_sdwa v83, v80, v140 dst_sel:DWORD dst_unused:UNUSED_PAD src0_sel:DWORD src1_sel:WORD_1
	v_mul_f16_sdwa v86, v120, v140 dst_sel:DWORD dst_unused:UNUSED_PAD src0_sel:DWORD src1_sel:WORD_1
	v_fma_f16 v83, v120, v140, -v83
	v_fma_f16 v80, v80, v140, v86
	v_pack_b32_f16 v80, v83, v80
	ds_write2_b32 v85, v76, v80 offset0:110 offset1:185
	s_waitcnt lgkmcnt(1)
	v_lshrrev_b32_e32 v76, 16, v84
	s_waitcnt vmcnt(0)
	v_mul_f16_sdwa v80, v76, v141 dst_sel:DWORD dst_unused:UNUSED_PAD src0_sel:DWORD src1_sel:WORD_1
	v_mul_f16_sdwa v83, v84, v141 dst_sel:DWORD dst_unused:UNUSED_PAD src0_sel:DWORD src1_sel:WORD_1
	v_fma_f16 v80, v84, v141, -v80
	v_fma_f16 v76, v76, v141, v83
	v_pack_b32_f16 v76, v80, v76
	ds_write_b32 v87, v76 offset:3600
	s_and_saveexec_b64 s[4:5], s[0:1]
	s_cbranch_execz .LBB0_13
; %bb.12:
	v_mov_b32_e32 v76, s13
	v_add_co_u32_e32 v75, vcc, s12, v75
	v_addc_co_u32_e32 v76, vcc, 0, v76, vcc
	global_load_dword v80, v[75:76], off offset:156
	global_load_dword v86, v[75:76], off offset:456
	;; [unrolled: 1-line block ×12, first 2 shown]
	ds_read2_b32 v[83:84], v87 offset0:39 offset1:114
	ds_read2_b32 v[119:120], v79 offset0:61 offset1:136
	;; [unrolled: 1-line block ×6, first 2 shown]
	global_load_dword v75, v[75:76], off offset:3756
	s_waitcnt lgkmcnt(5)
	v_lshrrev_b32_e32 v76, 16, v83
	v_lshrrev_b32_e32 v152, 16, v84
	s_waitcnt lgkmcnt(4)
	v_lshrrev_b32_e32 v153, 16, v119
	v_lshrrev_b32_e32 v154, 16, v120
	;; [unrolled: 3-line block ×5, first 2 shown]
	s_waitcnt vmcnt(12)
	v_mul_f16_sdwa v161, v76, v80 dst_sel:DWORD dst_unused:UNUSED_PAD src0_sel:DWORD src1_sel:WORD_1
	v_mul_f16_sdwa v162, v83, v80 dst_sel:DWORD dst_unused:UNUSED_PAD src0_sel:DWORD src1_sel:WORD_1
	s_waitcnt vmcnt(11)
	v_mul_f16_sdwa v163, v152, v86 dst_sel:DWORD dst_unused:UNUSED_PAD src0_sel:DWORD src1_sel:WORD_1
	v_mul_f16_sdwa v164, v84, v86 dst_sel:DWORD dst_unused:UNUSED_PAD src0_sel:DWORD src1_sel:WORD_1
	;; [unrolled: 3-line block ×8, first 2 shown]
	v_fma_f16 v83, v83, v80, -v161
	v_fma_f16 v76, v76, v80, v162
	v_fma_f16 v80, v84, v86, -v163
	v_fma_f16 v84, v152, v86, v164
	s_waitcnt vmcnt(4)
	v_mul_f16_sdwa v177, v159, v148 dst_sel:DWORD dst_unused:UNUSED_PAD src0_sel:DWORD src1_sel:WORD_1
	v_mul_f16_sdwa v178, v138, v148 dst_sel:DWORD dst_unused:UNUSED_PAD src0_sel:DWORD src1_sel:WORD_1
	s_waitcnt vmcnt(3)
	v_mul_f16_sdwa v179, v160, v149 dst_sel:DWORD dst_unused:UNUSED_PAD src0_sel:DWORD src1_sel:WORD_1
	v_mul_f16_sdwa v180, v139, v149 dst_sel:DWORD dst_unused:UNUSED_PAD src0_sel:DWORD src1_sel:WORD_1
	v_fma_f16 v86, v119, v142, -v165
	v_fma_f16 v119, v153, v142, v166
	v_fma_f16 v120, v120, v143, -v167
	v_fma_f16 v142, v154, v143, v168
	;; [unrolled: 2-line block ×6, first 2 shown]
	v_pack_b32_f16 v76, v83, v76
	v_pack_b32_f16 v80, v80, v84
	v_fma_f16 v138, v138, v148, -v177
	v_fma_f16 v147, v159, v148, v178
	v_fma_f16 v139, v139, v149, -v179
	v_pack_b32_f16 v83, v86, v119
	v_pack_b32_f16 v84, v120, v142
	;; [unrolled: 1-line block ×6, first 2 shown]
	ds_write2_b32 v87, v76, v80 offset0:39 offset1:114
	ds_write2_b32 v79, v83, v84 offset0:61 offset1:136
	;; [unrolled: 1-line block ×4, first 2 shown]
	v_fma_f16 v76, v160, v149, v180
	v_pack_b32_f16 v135, v138, v147
	v_pack_b32_f16 v76, v139, v76
	ds_write2_b32 v81, v135, v76 offset0:127 offset1:202
	s_waitcnt lgkmcnt(5)
	v_lshrrev_b32_e32 v76, 16, v140
	s_waitcnt vmcnt(2)
	v_mul_f16_sdwa v79, v76, v150 dst_sel:DWORD dst_unused:UNUSED_PAD src0_sel:DWORD src1_sel:WORD_1
	v_mul_f16_sdwa v80, v140, v150 dst_sel:DWORD dst_unused:UNUSED_PAD src0_sel:DWORD src1_sel:WORD_1
	v_fma_f16 v79, v140, v150, -v79
	v_fma_f16 v76, v76, v150, v80
	ds_read_b32 v83, v87 offset:3756
	v_pack_b32_f16 v76, v79, v76
	v_lshrrev_b32_e32 v79, 16, v141
	s_waitcnt vmcnt(1)
	v_mul_f16_sdwa v80, v79, v151 dst_sel:DWORD dst_unused:UNUSED_PAD src0_sel:DWORD src1_sel:WORD_1
	v_mul_f16_sdwa v84, v141, v151 dst_sel:DWORD dst_unused:UNUSED_PAD src0_sel:DWORD src1_sel:WORD_1
	v_fma_f16 v80, v141, v151, -v80
	v_fma_f16 v79, v79, v151, v84
	v_pack_b32_f16 v79, v80, v79
	ds_write2_b32 v78, v76, v79 offset0:21 offset1:96
	s_waitcnt lgkmcnt(1)
	v_lshrrev_b32_e32 v76, 16, v83
	s_waitcnt vmcnt(0)
	v_mul_f16_sdwa v78, v76, v75 dst_sel:DWORD dst_unused:UNUSED_PAD src0_sel:DWORD src1_sel:WORD_1
	v_mul_f16_sdwa v79, v83, v75 dst_sel:DWORD dst_unused:UNUSED_PAD src0_sel:DWORD src1_sel:WORD_1
	v_fma_f16 v78, v83, v75, -v78
	v_fma_f16 v75, v76, v75, v79
	v_pack_b32_f16 v75, v78, v75
	ds_write_b32 v87, v75 offset:3756
.LBB0_13:
	s_or_b64 exec, exec, s[4:5]
	s_waitcnt lgkmcnt(0)
	s_barrier
	ds_read2_b32 v[75:76], v87 offset1:75
	ds_read2_b32 v[83:84], v87 offset0:150 offset1:225
	ds_read2_b32 v[79:80], v77 offset0:44 offset1:119
	ds_read2_b32 v[77:78], v82 offset0:66 offset1:141
	ds_read2_b32 v[81:82], v81 offset0:88 offset1:163
	ds_read2_b32 v[85:86], v85 offset0:110 offset1:185
	ds_read_b32 v170, v87 offset:3600
	s_and_saveexec_b64 s[4:5], s[0:1]
	s_cbranch_execz .LBB0_15
; %bb.14:
	v_lshl_add_u32 v63, v42, 2, v101
	v_add_u32_e32 v64, 0x400, v63
	ds_read2_b32 v[67:68], v64 offset0:8 offset1:83
	ds_read2_b32 v[69:70], v64 offset0:158 offset1:233
	v_add_u32_e32 v64, 0x800, v63
	ds_read2_b32 v[65:66], v63 offset0:114 offset1:189
	ds_read2_b32 v[71:72], v64 offset0:52 offset1:127
	v_add_u32_e32 v64, 0xa00, v63
	v_add_u32_e32 v63, 0xc00, v63
	ds_read_b32 v121, v87 offset:156
	ds_read2_b32 v[73:74], v64 offset0:74 offset1:149
	ds_read2_b32 v[63:64], v63 offset0:96 offset1:171
	s_waitcnt lgkmcnt(4)
	v_lshrrev_b32_e32 v123, 16, v65
	v_lshrrev_b32_e32 v124, 16, v66
	s_waitcnt lgkmcnt(2)
	v_lshrrev_b32_e32 v122, 16, v121
	v_lshrrev_b32_e32 v125, 16, v67
	;; [unrolled: 1-line block ×7, first 2 shown]
	s_waitcnt lgkmcnt(1)
	v_lshrrev_b32_e32 v132, 16, v73
	v_lshrrev_b32_e32 v133, 16, v74
	s_waitcnt lgkmcnt(0)
	v_lshrrev_b32_e32 v131, 16, v63
	v_lshrrev_b32_e32 v118, 16, v64
.LBB0_15:
	s_or_b64 exec, exec, s[4:5]
	v_sub_f16_e32 v151, v123, v118
	v_add_f16_e32 v134, v64, v65
	v_add_f16_e32 v156, v118, v123
	s_movk_i32 s12, 0x3b15
	v_mul_f16_e32 v146, 0xb770, v151
	v_sub_f16_e32 v154, v124, v131
	v_sub_f16_e32 v136, v65, v64
	s_mov_b32 s27, 0xb770
	v_mul_f16_e32 v148, 0x3b15, v156
	v_fma_f16 v119, v134, s12, -v146
	v_add_f16_e32 v135, v63, v66
	v_add_f16_e32 v160, v131, v124
	s_movk_i32 s13, 0x388b
	v_mul_f16_e32 v147, 0xba95, v154
	v_add_f16_e32 v119, v121, v119
	v_fma_f16 v120, v136, s27, v148
	v_sub_f16_e32 v138, v66, v63
	s_mov_b32 s15, 0xba95
	v_mul_f16_e32 v150, 0x388b, v160
	v_fma_f16 v137, v135, s13, -v147
	v_add_f16_e32 v120, v122, v120
	v_add_f16_e32 v119, v137, v119
	v_fma_f16 v137, v138, s15, v150
	v_sub_f16_e32 v158, v125, v133
	v_add_f16_e32 v120, v137, v120
	v_add_f16_e32 v137, v74, v67
	;; [unrolled: 1-line block ×3, first 2 shown]
	s_movk_i32 s14, 0x2fb7
	v_mul_f16_e32 v149, 0xbbf1, v158
	v_sub_f16_e32 v140, v67, v74
	s_mov_b32 s20, 0xbbf1
	v_mul_f16_e32 v153, 0x2fb7, v163
	v_fma_f16 v139, v137, s14, -v149
	s_waitcnt lgkmcnt(6)
	v_pk_add_f16 v171, v75, v76
	v_add_f16_e32 v119, v139, v119
	v_fma_f16 v139, v140, s20, v153
	v_sub_f16_e32 v162, v127, v132
	v_add_f16_e32 v120, v139, v120
	v_add_f16_e32 v139, v73, v68
	;; [unrolled: 1-line block ×3, first 2 shown]
	s_mov_b32 s16, 0xb5ac
	v_mul_f16_e32 v152, 0xbb7b, v162
	s_waitcnt lgkmcnt(5)
	v_pk_add_f16 v171, v171, v83
	v_sub_f16_e32 v142, v68, v73
	s_mov_b32 s18, 0xbb7b
	v_mul_f16_e32 v157, 0xb5ac, v166
	v_fma_f16 v141, v139, s16, -v152
	v_pk_add_f16 v171, v171, v84
	v_add_f16_e32 v119, v141, v119
	v_fma_f16 v141, v142, s18, v157
	v_sub_f16_e32 v164, v128, v130
	s_waitcnt lgkmcnt(4)
	v_pk_add_f16 v171, v171, v79
	v_add_f16_e32 v120, v141, v120
	v_add_f16_e32 v141, v72, v69
	;; [unrolled: 1-line block ×3, first 2 shown]
	s_mov_b32 s17, 0xb9fd
	v_mul_f16_e32 v155, 0xb94e, v164
	v_pk_add_f16 v171, v171, v80
	v_sub_f16_e32 v144, v69, v72
	s_mov_b32 s22, 0xb94e
	v_mul_f16_e32 v161, 0xb9fd, v168
	v_fma_f16 v143, v141, s17, -v155
	s_waitcnt lgkmcnt(3)
	v_pk_add_f16 v171, v171, v77
	v_add_f16_e32 v119, v143, v119
	v_fma_f16 v143, v144, s22, v161
	v_sub_f16_e32 v167, v126, v129
	v_pk_add_f16 v171, v171, v78
	v_add_f16_e32 v120, v143, v120
	v_add_f16_e32 v143, v71, v70
	v_add_f16_e32 v169, v129, v126
	s_mov_b32 s19, 0xbbc4
	v_mul_f16_e32 v159, 0xb3a8, v167
	s_waitcnt lgkmcnt(2)
	v_pk_add_f16 v171, v171, v81
	v_sub_f16_e32 v145, v70, v71
	v_mul_f16_e32 v165, 0xbbc4, v169
	v_fma_f16 v172, v143, s19, -v159
	v_pk_add_f16 v171, v171, v82
	v_add_f16_e32 v119, v172, v119
	v_fma_f16 v172, v145, s21, v165
	s_waitcnt lgkmcnt(1)
	v_pk_add_f16 v171, v171, v85
	v_add_f16_e32 v120, v172, v120
	v_pk_add_f16 v171, v171, v86
	s_waitcnt lgkmcnt(0)
	v_pk_add_f16 v172, v170, v76
	v_pk_add_f16 v76, v76, v170 neg_lo:[0,1] neg_hi:[0,1]
	v_pk_add_f16 v171, v171, v170
	v_pk_mul_f16 v170, v76, s27 op_sel_hi:[1,0]
	v_pk_add_f16 v191, v86, v83
	v_pk_add_f16 v83, v83, v86 neg_lo:[0,1] neg_hi:[0,1]
	v_pk_fma_f16 v173, v172, s12, v170 op_sel:[0,0,1] op_sel_hi:[1,0,0]
	v_pk_fma_f16 v170, v172, s12, v170 op_sel:[0,0,1] op_sel_hi:[1,0,0] neg_lo:[0,0,1] neg_hi:[0,0,1]
	s_mov_b32 s4, 0xffff
	v_pk_mul_f16 v86, v83, s15 op_sel_hi:[1,0]
	v_bfi_b32 v174, s4, v173, v170
	v_pk_fma_f16 v192, v191, s13, v86 op_sel:[0,0,1] op_sel_hi:[1,0,0]
	v_pk_fma_f16 v86, v191, s13, v86 op_sel:[0,0,1] op_sel_hi:[1,0,0] neg_lo:[0,0,1] neg_hi:[0,0,1]
	v_pk_add_f16 v174, v75, v174
	v_mul_f16_sdwa v175, v76, s15 dst_sel:DWORD dst_unused:UNUSED_PAD src0_sel:WORD_1 src1_sel:DWORD
	v_bfi_b32 v193, s4, v192, v86
	v_fma_f16 v176, v172, s13, v175
	v_pk_add_f16 v174, v193, v174
	v_mul_f16_sdwa v193, v83, s18 dst_sel:DWORD dst_unused:UNUSED_PAD src0_sel:WORD_1 src1_sel:DWORD
	v_add_f16_e32 v176, v75, v176
	v_mul_f16_sdwa v177, v172, s13 dst_sel:DWORD dst_unused:UNUSED_PAD src0_sel:WORD_1 src1_sel:DWORD
	s_movk_i32 s25, 0x3a95
	v_fma_f16 v175, v172, s13, -v175
	v_fma_f16 v194, v191, s16, v193
	v_fma_f16 v178, v76, s25, v177
	v_add_f16_e32 v175, v75, v175
	v_fma_f16 v177, v76, s15, v177
	v_add_f16_e32 v176, v194, v176
	v_mul_f16_sdwa v194, v191, s16 dst_sel:DWORD dst_unused:UNUSED_PAD src0_sel:WORD_1 src1_sel:DWORD
	v_fma_f16 v193, v191, s16, -v193
	v_add_f16_sdwa v177, v75, v177 dst_sel:DWORD dst_unused:UNUSED_PAD src0_sel:WORD_1 src1_sel:DWORD
	v_mul_f16_sdwa v179, v76, s20 dst_sel:DWORD dst_unused:UNUSED_PAD src0_sel:WORD_1 src1_sel:DWORD
	v_add_f16_e32 v175, v193, v175
	v_fma_f16 v193, v83, s18, v194
	v_fma_f16 v180, v172, s14, v179
	s_movk_i32 s26, 0x3b7b
	v_add_f16_e32 v177, v193, v177
	v_mul_f16_sdwa v193, v83, s21 dst_sel:DWORD dst_unused:UNUSED_PAD src0_sel:WORD_1 src1_sel:DWORD
	v_add_f16_e32 v180, v75, v180
	v_mul_f16_sdwa v181, v172, s14 dst_sel:DWORD dst_unused:UNUSED_PAD src0_sel:WORD_1 src1_sel:DWORD
	s_movk_i32 s23, 0x3bf1
	v_fma_f16 v179, v172, s14, -v179
	v_fma_f16 v195, v83, s26, v194
	v_fma_f16 v194, v191, s19, v193
	;; [unrolled: 1-line block ×3, first 2 shown]
	v_add_f16_e32 v179, v75, v179
	v_fma_f16 v181, v76, s20, v181
	v_add_f16_e32 v180, v194, v180
	v_mul_f16_sdwa v194, v191, s19 dst_sel:DWORD dst_unused:UNUSED_PAD src0_sel:WORD_1 src1_sel:DWORD
	v_fma_f16 v193, v191, s19, -v193
	v_add_f16_sdwa v181, v75, v181 dst_sel:DWORD dst_unused:UNUSED_PAD src0_sel:WORD_1 src1_sel:DWORD
	v_mul_f16_sdwa v183, v76, s18 dst_sel:DWORD dst_unused:UNUSED_PAD src0_sel:WORD_1 src1_sel:DWORD
	s_movk_i32 s24, 0x394e
	v_add_f16_e32 v179, v193, v179
	v_fma_f16 v193, v83, s21, v194
	v_add_f16_sdwa v178, v75, v178 dst_sel:DWORD dst_unused:UNUSED_PAD src0_sel:WORD_1 src1_sel:DWORD
	v_fma_f16 v184, v172, s16, v183
	s_movk_i32 s28, 0x33a8
	v_add_f16_e32 v181, v193, v181
	v_mul_f16_sdwa v193, v83, s24 dst_sel:DWORD dst_unused:UNUSED_PAD src0_sel:WORD_1 src1_sel:DWORD
	v_add_f16_e32 v184, v75, v184
	v_mul_f16_sdwa v185, v172, s16 dst_sel:DWORD dst_unused:UNUSED_PAD src0_sel:WORD_1 src1_sel:DWORD
	v_fma_f16 v183, v172, s16, -v183
	v_add_f16_e32 v178, v195, v178
	v_fma_f16 v195, v83, s28, v194
	v_fma_f16 v194, v191, s17, v193
	;; [unrolled: 1-line block ×3, first 2 shown]
	v_add_f16_e32 v183, v75, v183
	v_fma_f16 v185, v76, s18, v185
	v_add_f16_e32 v184, v194, v184
	v_mul_f16_sdwa v194, v191, s17 dst_sel:DWORD dst_unused:UNUSED_PAD src0_sel:WORD_1 src1_sel:DWORD
	v_fma_f16 v193, v191, s17, -v193
	v_add_f16_sdwa v185, v75, v185 dst_sel:DWORD dst_unused:UNUSED_PAD src0_sel:WORD_1 src1_sel:DWORD
	v_mul_f16_sdwa v187, v76, s22 dst_sel:DWORD dst_unused:UNUSED_PAD src0_sel:WORD_1 src1_sel:DWORD
	v_add_f16_e32 v183, v193, v183
	v_fma_f16 v193, v83, s24, v194
	v_add_f16_sdwa v182, v75, v182 dst_sel:DWORD dst_unused:UNUSED_PAD src0_sel:WORD_1 src1_sel:DWORD
	v_fma_f16 v188, v172, s17, v187
	v_add_f16_e32 v185, v193, v185
	v_mul_f16_sdwa v193, v83, s23 dst_sel:DWORD dst_unused:UNUSED_PAD src0_sel:WORD_1 src1_sel:DWORD
	v_add_f16_e32 v188, v75, v188
	v_mul_f16_sdwa v189, v172, s17 dst_sel:DWORD dst_unused:UNUSED_PAD src0_sel:WORD_1 src1_sel:DWORD
	v_fma_f16 v187, v172, s17, -v187
	v_add_f16_e32 v182, v195, v182
	v_fma_f16 v195, v83, s22, v194
	v_fma_f16 v194, v191, s14, v193
	;; [unrolled: 1-line block ×3, first 2 shown]
	v_add_f16_e32 v187, v75, v187
	v_fma_f16 v189, v76, s22, v189
	v_add_f16_e32 v188, v194, v188
	v_mul_f16_sdwa v194, v191, s14 dst_sel:DWORD dst_unused:UNUSED_PAD src0_sel:WORD_1 src1_sel:DWORD
	v_fma_f16 v193, v191, s14, -v193
	v_add_f16_sdwa v189, v75, v189 dst_sel:DWORD dst_unused:UNUSED_PAD src0_sel:WORD_1 src1_sel:DWORD
	v_add_f16_e32 v187, v193, v187
	v_fma_f16 v193, v83, s23, v194
	v_add_f16_e32 v189, v193, v189
	v_pk_add_f16 v193, v85, v84
	v_pk_add_f16 v84, v84, v85 neg_lo:[0,1] neg_hi:[0,1]
	v_add_f16_sdwa v186, v75, v186 dst_sel:DWORD dst_unused:UNUSED_PAD src0_sel:WORD_1 src1_sel:DWORD
	v_pk_mul_f16 v85, v84, s20 op_sel_hi:[1,0]
	v_add_f16_sdwa v190, v75, v190 dst_sel:DWORD dst_unused:UNUSED_PAD src0_sel:WORD_1 src1_sel:DWORD
	v_add_f16_e32 v186, v195, v186
	v_fma_f16 v195, v83, s20, v194
	v_pk_fma_f16 v194, v193, s14, v85 op_sel:[0,0,1] op_sel_hi:[1,0,0]
	v_pk_fma_f16 v85, v193, s14, v85 op_sel:[0,0,1] op_sel_hi:[1,0,0] neg_lo:[0,0,1] neg_hi:[0,0,1]
	v_add_f16_e32 v190, v195, v190
	v_bfi_b32 v195, s4, v194, v85
	v_pk_add_f16 v174, v195, v174
	v_mul_f16_sdwa v195, v84, s21 dst_sel:DWORD dst_unused:UNUSED_PAD src0_sel:WORD_1 src1_sel:DWORD
	v_fma_f16 v196, v193, s19, v195
	v_add_f16_e32 v176, v196, v176
	v_mul_f16_sdwa v196, v193, s19 dst_sel:DWORD dst_unused:UNUSED_PAD src0_sel:WORD_1 src1_sel:DWORD
	v_fma_f16 v195, v193, s19, -v195
	v_add_f16_e32 v175, v195, v175
	v_fma_f16 v195, v84, s21, v196
	v_add_f16_e32 v177, v195, v177
	v_mul_f16_sdwa v195, v84, s26 dst_sel:DWORD dst_unused:UNUSED_PAD src0_sel:WORD_1 src1_sel:DWORD
	v_fma_f16 v197, v84, s28, v196
	v_fma_f16 v196, v193, s16, v195
	v_add_f16_e32 v180, v196, v180
	v_mul_f16_sdwa v196, v193, s16 dst_sel:DWORD dst_unused:UNUSED_PAD src0_sel:WORD_1 src1_sel:DWORD
	v_fma_f16 v195, v193, s16, -v195
	v_add_f16_e32 v179, v195, v179
	v_fma_f16 v195, v84, s26, v196
	s_movk_i32 s29, 0x3770
	v_add_f16_e32 v181, v195, v181
	v_mul_f16_sdwa v195, v84, s29 dst_sel:DWORD dst_unused:UNUSED_PAD src0_sel:WORD_1 src1_sel:DWORD
	v_add_f16_e32 v178, v197, v178
	v_fma_f16 v197, v84, s18, v196
	v_fma_f16 v196, v193, s12, v195
	v_add_f16_e32 v184, v196, v184
	v_mul_f16_sdwa v196, v193, s12 dst_sel:DWORD dst_unused:UNUSED_PAD src0_sel:WORD_1 src1_sel:DWORD
	v_fma_f16 v195, v193, s12, -v195
	v_add_f16_e32 v183, v195, v183
	v_fma_f16 v195, v84, s29, v196
	v_add_f16_e32 v185, v195, v185
	v_mul_f16_sdwa v195, v84, s15 dst_sel:DWORD dst_unused:UNUSED_PAD src0_sel:WORD_1 src1_sel:DWORD
	v_add_f16_e32 v182, v197, v182
	v_fma_f16 v197, v84, s27, v196
	v_fma_f16 v196, v193, s13, v195
	v_add_f16_e32 v188, v196, v188
	v_mul_f16_sdwa v196, v193, s13 dst_sel:DWORD dst_unused:UNUSED_PAD src0_sel:WORD_1 src1_sel:DWORD
	v_fma_f16 v195, v193, s13, -v195
	v_add_f16_e32 v187, v195, v187
	v_fma_f16 v195, v84, s15, v196
	v_add_f16_e32 v189, v195, v189
	v_pk_add_f16 v195, v82, v79
	v_pk_add_f16 v79, v79, v82 neg_lo:[0,1] neg_hi:[0,1]
	v_pk_mul_f16 v82, v79, s18 op_sel_hi:[1,0]
	v_add_f16_e32 v186, v197, v186
	v_fma_f16 v197, v84, s25, v196
	v_pk_fma_f16 v196, v195, s16, v82 op_sel:[0,0,1] op_sel_hi:[1,0,0]
	v_pk_fma_f16 v82, v195, s16, v82 op_sel:[0,0,1] op_sel_hi:[1,0,0] neg_lo:[0,0,1] neg_hi:[0,0,1]
	v_add_f16_e32 v190, v197, v190
	v_bfi_b32 v197, s4, v196, v82
	v_pk_add_f16 v174, v197, v174
	v_mul_f16_sdwa v197, v79, s24 dst_sel:DWORD dst_unused:UNUSED_PAD src0_sel:WORD_1 src1_sel:DWORD
	v_fma_f16 v198, v195, s17, v197
	v_add_f16_e32 v176, v198, v176
	v_mul_f16_sdwa v198, v195, s17 dst_sel:DWORD dst_unused:UNUSED_PAD src0_sel:WORD_1 src1_sel:DWORD
	v_fma_f16 v197, v195, s17, -v197
	v_add_f16_e32 v175, v197, v175
	v_fma_f16 v197, v79, s24, v198
	v_add_f16_e32 v177, v197, v177
	v_mul_f16_sdwa v197, v79, s29 dst_sel:DWORD dst_unused:UNUSED_PAD src0_sel:WORD_1 src1_sel:DWORD
	v_fma_f16 v199, v79, s22, v198
	v_fma_f16 v198, v195, s12, v197
	v_add_f16_e32 v180, v198, v180
	v_mul_f16_sdwa v198, v195, s12 dst_sel:DWORD dst_unused:UNUSED_PAD src0_sel:WORD_1 src1_sel:DWORD
	v_fma_f16 v197, v195, s12, -v197
	v_add_f16_e32 v179, v197, v179
	v_fma_f16 v197, v79, s29, v198
	v_add_f16_e32 v181, v197, v181
	v_mul_f16_sdwa v197, v79, s20 dst_sel:DWORD dst_unused:UNUSED_PAD src0_sel:WORD_1 src1_sel:DWORD
	v_add_f16_e32 v178, v199, v178
	v_fma_f16 v199, v79, s27, v198
	v_fma_f16 v198, v195, s14, v197
	v_add_f16_e32 v184, v198, v184
	v_mul_f16_sdwa v198, v195, s14 dst_sel:DWORD dst_unused:UNUSED_PAD src0_sel:WORD_1 src1_sel:DWORD
	v_fma_f16 v197, v195, s14, -v197
	v_add_f16_e32 v183, v197, v183
	v_fma_f16 v197, v79, s20, v198
	v_add_f16_e32 v185, v197, v185
	v_mul_f16_sdwa v197, v79, s28 dst_sel:DWORD dst_unused:UNUSED_PAD src0_sel:WORD_1 src1_sel:DWORD
	v_add_f16_e32 v182, v199, v182
	v_fma_f16 v199, v79, s23, v198
	v_fma_f16 v198, v195, s19, v197
	v_add_f16_e32 v188, v198, v188
	v_mul_f16_sdwa v198, v195, s19 dst_sel:DWORD dst_unused:UNUSED_PAD src0_sel:WORD_1 src1_sel:DWORD
	v_fma_f16 v197, v195, s19, -v197
	v_add_f16_e32 v187, v197, v187
	v_fma_f16 v197, v79, s28, v198
	v_add_f16_e32 v189, v197, v189
	v_pk_add_f16 v197, v81, v80
	v_pk_add_f16 v80, v80, v81 neg_lo:[0,1] neg_hi:[0,1]
	v_pk_mul_f16 v81, v80, s22 op_sel_hi:[1,0]
	v_add_f16_e32 v186, v199, v186
	v_fma_f16 v199, v79, s21, v198
	v_pk_fma_f16 v198, v197, s17, v81 op_sel:[0,0,1] op_sel_hi:[1,0,0]
	v_pk_fma_f16 v81, v197, s17, v81 op_sel:[0,0,1] op_sel_hi:[1,0,0] neg_lo:[0,0,1] neg_hi:[0,0,1]
	v_add_f16_e32 v190, v199, v190
	v_bfi_b32 v199, s4, v198, v81
	v_pk_add_f16 v174, v199, v174
	v_mul_f16_sdwa v199, v80, s23 dst_sel:DWORD dst_unused:UNUSED_PAD src0_sel:WORD_1 src1_sel:DWORD
	v_fma_f16 v200, v197, s14, v199
	v_add_f16_e32 v176, v200, v176
	v_mul_f16_sdwa v200, v197, s14 dst_sel:DWORD dst_unused:UNUSED_PAD src0_sel:WORD_1 src1_sel:DWORD
	v_fma_f16 v199, v197, s14, -v199
	v_add_f16_e32 v175, v199, v175
	v_fma_f16 v199, v80, s23, v200
	v_add_f16_e32 v177, v199, v177
	v_mul_f16_sdwa v199, v80, s15 dst_sel:DWORD dst_unused:UNUSED_PAD src0_sel:WORD_1 src1_sel:DWORD
	v_fma_f16 v201, v80, s20, v200
	v_fma_f16 v200, v197, s13, v199
	v_add_f16_e32 v180, v200, v180
	v_mul_f16_sdwa v200, v197, s13 dst_sel:DWORD dst_unused:UNUSED_PAD src0_sel:WORD_1 src1_sel:DWORD
	v_fma_f16 v199, v197, s13, -v199
	v_add_f16_e32 v179, v199, v179
	v_fma_f16 v199, v80, s15, v200
	;; [unrolled: 47-line block ×3, first 2 shown]
	v_add_f16_e32 v181, v201, v181
	v_mul_f16_sdwa v201, v77, s25 dst_sel:DWORD dst_unused:UNUSED_PAD src0_sel:WORD_1 src1_sel:DWORD
	v_add_f16_e32 v178, v203, v178
	v_fma_f16 v203, v77, s24, v202
	v_fma_f16 v202, v199, s13, v201
	v_add_f16_e32 v184, v202, v184
	v_mul_f16_sdwa v202, v199, s13 dst_sel:DWORD dst_unused:UNUSED_PAD src0_sel:WORD_1 src1_sel:DWORD
	v_fma_f16 v201, v199, s13, -v201
	v_add_f16_e32 v183, v201, v183
	v_fma_f16 v201, v77, s25, v202
	v_add_f16_e32 v185, v201, v185
	v_mul_f16_sdwa v201, v77, s18 dst_sel:DWORD dst_unused:UNUSED_PAD src0_sel:WORD_1 src1_sel:DWORD
	v_add_f16_e32 v182, v203, v182
	v_fma_f16 v203, v77, s15, v202
	v_fma_f16 v202, v199, s16, v201
	v_add_f16_e32 v188, v202, v188
	v_mul_f16_sdwa v202, v199, s16 dst_sel:DWORD dst_unused:UNUSED_PAD src0_sel:WORD_1 src1_sel:DWORD
	v_add_f16_e32 v186, v203, v186
	v_fma_f16 v203, v77, s26, v202
	s_barrier
	v_add_f16_e32 v190, v203, v190
	ds_write2_b32 v102, v171, v174 offset1:1
	v_pack_b32_f16 v171, v180, v182
	v_pack_b32_f16 v174, v176, v178
	ds_write2_b32 v102, v174, v171 offset0:2 offset1:3
	v_pack_b32_f16 v171, v188, v190
	v_pack_b32_f16 v174, v184, v186
	ds_write2_b32 v102, v174, v171 offset0:4 offset1:5
	v_pk_mul_f16 v171, v172, s19 op_sel_hi:[1,0]
	v_pk_fma_f16 v172, v76, s21, v171 op_sel:[0,0,1] op_sel_hi:[1,0,0]
	v_pk_fma_f16 v76, v76, s21, v171 op_sel:[0,0,1] op_sel_hi:[1,0,0] neg_lo:[1,0,0] neg_hi:[1,0,0]
	v_alignbit_b32 v171, s0, v75, 16
	v_alignbit_b32 v174, s0, v172, 16
	v_pk_add_f16 v171, v171, v172
	v_pk_mul_f16 v172, v191, s12 op_sel_hi:[1,0]
	v_pk_add_f16 v76, v75, v76 op_sel:[1,0] op_sel_hi:[0,1]
	v_pk_fma_f16 v176, v83, s29, v172 op_sel:[0,0,1] op_sel_hi:[1,0,0]
	v_pk_fma_f16 v83, v83, s29, v172 op_sel:[0,0,1] op_sel_hi:[1,0,0] neg_lo:[1,0,0] neg_hi:[1,0,0]
	v_pk_add_f16 v76, v83, v76
	v_pk_add_f16 v83, v176, v171
	v_pk_mul_f16 v171, v193, s17 op_sel_hi:[1,0]
	v_pk_fma_f16 v172, v84, s22, v171 op_sel:[0,0,1] op_sel_hi:[1,0,0]
	v_pk_fma_f16 v84, v84, s22, v171 op_sel:[0,0,1] op_sel_hi:[1,0,0] neg_lo:[1,0,0] neg_hi:[1,0,0]
	v_pk_add_f16 v76, v84, v76
	v_pk_mul_f16 v84, v195, s13 op_sel_hi:[1,0]
	v_pk_add_f16 v83, v172, v83
	v_pk_fma_f16 v171, v79, s25, v84 op_sel:[0,0,1] op_sel_hi:[1,0,0]
	v_pk_fma_f16 v79, v79, s25, v84 op_sel:[0,0,1] op_sel_hi:[1,0,0] neg_lo:[1,0,0] neg_hi:[1,0,0]
	v_pk_add_f16 v174, v75, v174
	v_alignbit_b32 v178, s0, v176, 16
	v_pk_add_f16 v76, v79, v76
	v_pk_add_f16 v79, v171, v83
	v_pk_mul_f16 v83, v197, s16 op_sel_hi:[1,0]
	v_pk_add_f16 v174, v178, v174
	v_alignbit_b32 v176, s0, v172, 16
	v_pk_fma_f16 v84, v80, s18, v83 op_sel:[0,0,1] op_sel_hi:[1,0,0]
	v_pk_fma_f16 v80, v80, s18, v83 op_sel:[0,0,1] op_sel_hi:[1,0,0] neg_lo:[1,0,0] neg_hi:[1,0,0]
	v_pk_add_f16 v174, v176, v174
	v_alignbit_b32 v172, s0, v171, 16
	v_pk_add_f16 v76, v80, v76
	v_pk_mul_f16 v80, v199, s14 op_sel_hi:[1,0]
	v_fma_f16 v201, v199, s16, -v201
	v_pk_add_f16 v172, v172, v174
	v_alignbit_b32 v171, s0, v84, 16
	v_pk_fma_f16 v83, v77, s23, v80 op_sel:[0,0,1] op_sel_hi:[1,0,0]
	v_add_f16_e32 v187, v201, v187
	v_fma_f16 v201, v77, s18, v202
	v_pk_add_f16 v171, v171, v172
	v_pk_add_f16 v79, v84, v79
	v_alignbit_b32 v84, s0, v83, 16
	v_pk_fma_f16 v77, v77, s23, v80 op_sel:[0,0,1] op_sel_hi:[1,0,0] neg_lo:[1,0,0] neg_hi:[1,0,0]
	v_pk_add_f16 v84, v84, v171
	v_pk_add_f16 v76, v77, v76
	v_pk_add_f16 v77, v83, v79
	v_add_f16_e32 v189, v201, v189
	v_alignbit_b32 v77, v77, v76, 16
	v_pack_b32_f16 v76, v84, v76
	ds_write2_b32 v102, v76, v77 offset0:6 offset1:7
	v_pack_b32_f16 v76, v183, v185
	v_pack_b32_f16 v77, v187, v189
	ds_write2_b32 v102, v77, v76 offset0:8 offset1:9
	v_pack_b32_f16 v76, v175, v177
	v_pack_b32_f16 v77, v179, v181
	ds_write2_b32 v102, v77, v76 offset0:10 offset1:11
	v_bfi_b32 v76, s4, v170, v173
	v_pk_add_f16 v75, v75, v76
	v_bfi_b32 v76, s4, v86, v192
	v_pk_add_f16 v75, v76, v75
	;; [unrolled: 2-line block ×6, first 2 shown]
	ds_write_b32 v102, v75 offset:48
	s_and_saveexec_b64 s[4:5], s[0:1]
	s_cbranch_execz .LBB0_17
; %bb.16:
	v_mul_f16_e32 v102, 0xbbc4, v156
	v_fma_f16 v170, v136, s28, v102
	v_mul_f16_e32 v171, 0x3b15, v160
	v_add_f16_e32 v170, v122, v170
	v_fma_f16 v172, v138, s27, v171
	v_add_f16_e32 v170, v172, v170
	v_mul_f16_e32 v172, 0xb9fd, v163
	v_fma_f16 v173, v140, s24, v172
	v_add_f16_e32 v170, v173, v170
	v_mul_f16_e32 v173, 0x388b, v166
	;; [unrolled: 3-line block ×5, first 2 shown]
	v_fma_f16 v177, v134, s19, v176
	v_mul_f16_e32 v178, 0x3770, v154
	v_add_f16_e32 v177, v121, v177
	v_fma_f16 v179, v135, s12, v178
	v_add_f16_e32 v177, v179, v177
	v_mul_f16_e32 v179, 0xb94e, v158
	v_fma_f16 v180, v137, s17, v179
	v_add_f16_e32 v177, v180, v177
	v_mul_f16_e32 v180, 0x3a95, v162
	;; [unrolled: 3-line block ×5, first 2 shown]
	v_fma_f16 v184, v136, s24, v183
	v_mul_f16_e32 v185, 0x2fb7, v160
	v_add_f16_e32 v184, v122, v184
	v_fma_f16 v186, v138, s20, v185
	v_add_f16_e32 v184, v186, v184
	v_mul_f16_e32 v186, 0x388b, v163
	v_fma_f16 v187, v140, s25, v186
	v_add_f16_e32 v184, v187, v184
	v_mul_f16_e32 v187, 0xbbc4, v166
	;; [unrolled: 3-line block ×3, first 2 shown]
	v_fma_f16 v189, v144, s27, v188
	v_add_f16_e32 v65, v65, v121
	v_add_f16_e32 v184, v189, v184
	v_mul_f16_e32 v189, 0xb5ac, v169
	v_add_f16_e32 v65, v66, v65
	v_fma_f16 v190, v145, s26, v189
	v_add_f16_e32 v65, v67, v65
	v_add_f16_e32 v184, v190, v184
	v_mul_f16_e32 v190, 0xb94e, v151
	v_add_f16_e32 v65, v68, v65
	v_fma_f16 v191, v134, s17, v190
	v_mul_f16_e32 v192, 0x3bf1, v154
	v_add_f16_e32 v65, v69, v65
	v_add_f16_e32 v191, v121, v191
	v_fma_f16 v193, v135, s14, v192
	v_add_f16_e32 v65, v70, v65
	v_add_f16_e32 v191, v193, v191
	v_mul_f16_e32 v193, 0xba95, v158
	v_add_f16_e32 v65, v71, v65
	v_fma_f16 v194, v137, s13, v193
	v_add_f16_e32 v65, v72, v65
	v_add_f16_e32 v191, v194, v191
	v_mul_f16_e32 v194, 0x33a8, v162
	;; [unrolled: 5-line block ×3, first 2 shown]
	v_add_f16_e32 v63, v63, v65
	v_fma_f16 v65, v136, s21, v102
	v_fma_f16 v196, v141, s12, v195
	v_add_f16_e32 v65, v122, v65
	v_fma_f16 v66, v138, s29, v171
	v_add_f16_e32 v191, v196, v191
	v_mul_f16_e32 v196, 0xbb7b, v167
	v_add_f16_e32 v65, v66, v65
	v_fma_f16 v66, v140, s22, v172
	v_fma_f16 v197, v143, s16, v196
	v_add_f16_e32 v65, v66, v65
	v_fma_f16 v66, v142, s25, v173
	v_add_f16_e32 v191, v197, v191
	v_mul_f16_e32 v197, 0xb5ac, v156
	v_add_f16_e32 v65, v66, v65
	v_fma_f16 v66, v144, s18, v174
	v_fma_f16 v198, v136, s26, v197
	v_mul_f16_e32 v199, 0xb9fd, v160
	v_add_f16_e32 v65, v66, v65
	v_fma_f16 v66, v145, s23, v175
	v_add_f16_e32 v198, v122, v198
	v_fma_f16 v200, v138, s22, v199
	v_add_f16_e32 v65, v66, v65
	v_fma_f16 v66, v134, s19, -v176
	v_add_f16_e32 v198, v200, v198
	v_mul_f16_e32 v200, 0x3b15, v163
	v_add_f16_e32 v66, v121, v66
	v_fma_f16 v67, v135, s12, -v178
	v_fma_f16 v201, v140, s27, v200
	v_add_f16_e32 v66, v67, v66
	v_fma_f16 v67, v137, s17, -v179
	v_add_f16_e32 v198, v201, v198
	v_mul_f16_e32 v201, 0x2fb7, v166
	v_add_f16_e32 v66, v67, v66
	v_fma_f16 v67, v139, s13, -v180
	;; [unrolled: 7-line block ×3, first 2 shown]
	v_fma_f16 v203, v144, s21, v202
	v_add_f16_e32 v66, v67, v66
	v_fma_f16 v67, v136, s22, v183
	v_add_f16_e32 v198, v203, v198
	v_mul_f16_e32 v203, 0x388b, v169
	v_add_f16_e32 v67, v122, v67
	v_fma_f16 v68, v138, s23, v185
	v_fma_f16 v204, v145, s15, v203
	v_add_f16_e32 v67, v68, v67
	v_fma_f16 v68, v140, s15, v186
	v_add_f16_e32 v198, v204, v198
	v_mul_f16_e32 v204, 0xbb7b, v151
	v_add_f16_e32 v67, v68, v67
	v_fma_f16 v68, v142, s28, v187
	v_fma_f16 v205, v134, s16, v204
	v_mul_f16_e32 v206, 0x394e, v154
	v_add_f16_e32 v67, v68, v67
	v_fma_f16 v68, v144, s29, v188
	v_add_f16_e32 v205, v121, v205
	v_fma_f16 v207, v135, s17, v206
	;; [unrolled: 2-line block ×3, first 2 shown]
	v_add_f16_e32 v205, v207, v205
	v_mul_f16_e32 v207, 0x3770, v158
	v_add_f16_e32 v67, v68, v67
	v_fma_f16 v68, v134, s17, -v190
	v_fma_f16 v208, v137, s12, v207
	v_add_f16_e32 v68, v121, v68
	v_fma_f16 v69, v135, s14, -v192
	v_add_f16_e32 v205, v208, v205
	v_mul_f16_e32 v208, 0xbbf1, v162
	v_add_f16_e32 v68, v69, v68
	v_fma_f16 v69, v137, s13, -v193
	v_fma_f16 v209, v139, s14, v208
	v_add_f16_e32 v68, v69, v68
	v_fma_f16 v69, v139, s19, -v194
	;; [unrolled: 7-line block ×3, first 2 shown]
	v_add_f16_e32 v205, v210, v205
	v_mul_f16_e32 v210, 0x3a95, v167
	v_add_f16_e32 v68, v69, v68
	v_fma_f16 v69, v136, s18, v197
	v_fma_f16 v211, v143, s13, v210
	v_add_f16_e32 v69, v122, v69
	v_fma_f16 v70, v138, s24, v199
	v_add_f16_e32 v205, v211, v205
	v_mul_f16_e32 v211, 0x2fb7, v156
	v_add_f16_e32 v69, v70, v69
	v_fma_f16 v70, v140, s29, v200
	v_fma_f16 v212, v136, s23, v211
	v_mul_f16_e32 v213, 0xbbc4, v160
	v_add_f16_e32 v69, v70, v69
	v_fma_f16 v70, v142, s20, v201
	v_add_f16_e32 v212, v122, v212
	v_fma_f16 v214, v138, s28, v213
	;; [unrolled: 2-line block ×3, first 2 shown]
	v_add_f16_e32 v212, v214, v212
	v_mul_f16_e32 v214, 0xb5ac, v163
	v_add_f16_e32 v69, v70, v69
	v_fma_f16 v70, v145, s25, v203
	v_fma_f16 v215, v140, s18, v214
	v_add_f16_e32 v69, v70, v69
	v_fma_f16 v70, v134, s16, -v204
	v_add_f16_e32 v212, v215, v212
	v_mul_f16_e32 v215, 0x3b15, v166
	v_add_f16_e32 v70, v121, v70
	v_fma_f16 v71, v135, s17, -v206
	v_fma_f16 v216, v142, s27, v215
	v_add_f16_e32 v70, v71, v70
	v_fma_f16 v71, v137, s12, -v207
	v_add_f16_e32 v212, v216, v212
	v_mul_f16_e32 v216, 0x388b, v168
	v_add_f16_e32 v70, v71, v70
	v_fma_f16 v71, v139, s14, -v208
	;; [unrolled: 7-line block ×3, first 2 shown]
	v_fma_f16 v218, v145, s24, v217
	v_add_f16_e32 v70, v71, v70
	v_fma_f16 v71, v136, s20, v211
	v_add_f16_e32 v212, v218, v212
	v_mul_f16_e32 v218, 0xbbf1, v151
	v_add_f16_e32 v71, v122, v71
	v_fma_f16 v72, v138, s21, v213
	v_fma_f16 v219, v134, s14, v218
	v_mul_f16_e32 v220, 0xb3a8, v154
	v_add_f16_e32 v71, v72, v71
	v_fma_f16 v72, v140, s26, v214
	v_add_f16_e32 v219, v121, v219
	v_fma_f16 v221, v135, s19, v220
	;; [unrolled: 2-line block ×3, first 2 shown]
	v_add_f16_e32 v219, v221, v219
	v_mul_f16_e32 v221, 0x3b7b, v158
	v_add_f16_e32 v71, v72, v71
	v_fma_f16 v72, v144, s15, v216
	v_fma_f16 v222, v137, s16, v221
	v_add_f16_e32 v71, v72, v71
	v_fma_f16 v72, v145, s22, v217
	v_add_f16_e32 v219, v222, v219
	v_mul_f16_e32 v222, 0x3770, v162
	v_add_f16_e32 v71, v72, v71
	v_fma_f16 v72, v134, s14, -v218
	v_fma_f16 v223, v139, s12, v222
	v_add_f16_e32 v72, v121, v72
	v_fma_f16 v73, v135, s19, -v220
	v_add_f16_e32 v219, v223, v219
	v_mul_f16_e32 v223, 0xba95, v164
	v_add_f16_e32 v72, v73, v72
	v_fma_f16 v73, v137, s16, -v221
	v_fma_f16 v224, v141, s13, v223
	v_add_f16_e32 v72, v73, v72
	v_fma_f16 v73, v139, s12, -v222
	v_add_f16_e32 v219, v224, v219
	v_mul_f16_e32 v224, 0xb94e, v167
	v_add_f16_e32 v72, v73, v72
	v_fma_f16 v73, v141, s13, -v223
	v_fma_f16 v225, v143, s17, v224
	v_mul_f16_e32 v156, 0x388b, v156
	v_add_f16_e32 v72, v73, v72
	v_fma_f16 v73, v143, s17, -v224
	v_mul_f16_e32 v75, 0x3b15, v134
	v_add_f16_e32 v219, v225, v219
	v_fma_f16 v225, v136, s25, v156
	v_mul_f16_e32 v160, 0xb5ac, v160
	v_add_f16_e32 v63, v64, v63
	v_add_f16_e32 v64, v123, v122
	;; [unrolled: 1-line block ×3, first 2 shown]
	v_fma_f16 v73, v136, s15, v156
	v_mul_f16_e32 v77, 0x388b, v135
	v_add_f16_e32 v225, v122, v225
	v_fma_f16 v226, v138, s26, v160
	v_mul_f16_e32 v163, 0xbbc4, v163
	v_add_f16_e32 v75, v75, v146
	v_add_f16_e32 v64, v124, v64
	;; [unrolled: 1-line block ×3, first 2 shown]
	v_fma_f16 v74, v138, s18, v160
	v_mul_f16_e32 v79, 0x2fb7, v137
	v_add_f16_e32 v225, v226, v225
	v_fma_f16 v226, v140, s28, v163
	v_mul_f16_e32 v166, 0xb9fd, v166
	v_add_f16_e32 v75, v121, v75
	v_add_f16_e32 v77, v77, v147
	;; [unrolled: 1-line block ×4, first 2 shown]
	v_fma_f16 v74, v140, s21, v163
	v_mul_f16_e32 v81, 0xb5ac, v139
	v_add_f16_e32 v225, v226, v225
	v_fma_f16 v226, v142, s22, v166
	v_mul_f16_e32 v168, 0x2fb7, v168
	v_add_f16_e32 v75, v77, v75
	v_add_f16_e32 v77, v79, v149
	;; [unrolled: 1-line block ×4, first 2 shown]
	v_fma_f16 v74, v142, s24, v166
	v_mul_f16_e32 v76, 0xb770, v136
	v_mul_f16_e32 v83, 0xb9fd, v141
	v_add_f16_e32 v225, v226, v225
	v_fma_f16 v226, v144, s20, v168
	v_mul_f16_e32 v169, 0x3b15, v169
	v_add_f16_e32 v75, v77, v75
	v_add_f16_e32 v77, v81, v152
	;; [unrolled: 1-line block ×4, first 2 shown]
	v_fma_f16 v74, v144, s23, v168
	v_mul_f16_e32 v78, 0xba95, v138
	v_mul_f16_e32 v85, 0xbbc4, v143
	v_add_f16_e32 v225, v226, v225
	v_fma_f16 v226, v145, s27, v169
	v_mul_f16_e32 v151, 0xba95, v151
	v_sub_f16_e32 v76, v148, v76
	v_add_f16_e32 v75, v77, v75
	v_add_f16_e32 v77, v83, v155
	;; [unrolled: 1-line block ×4, first 2 shown]
	v_fma_f16 v74, v145, s29, v169
	v_mul_f16_e32 v80, 0xbbf1, v140
	v_add_f16_e32 v225, v226, v225
	v_fma_f16 v226, v134, s13, v151
	v_mul_f16_e32 v154, 0xbb7b, v154
	v_add_f16_e32 v76, v122, v76
	v_sub_f16_e32 v78, v150, v78
	v_add_f16_e32 v75, v77, v75
	v_add_f16_e32 v77, v85, v159
	;; [unrolled: 1-line block ×4, first 2 shown]
	v_fma_f16 v74, v134, s13, -v151
	v_mul_f16_e32 v82, 0xbb7b, v142
	v_add_f16_e32 v226, v121, v226
	v_fma_f16 v227, v135, s16, v154
	v_mul_f16_e32 v158, 0xb3a8, v158
	v_add_f16_e32 v76, v78, v76
	v_sub_f16_e32 v78, v153, v80
	v_add_f16_e32 v75, v77, v75
	v_add_f16_e32 v64, v130, v64
	;; [unrolled: 1-line block ×3, first 2 shown]
	v_fma_f16 v77, v135, s16, -v154
	v_mul_f16_e32 v84, 0xb94e, v144
	v_add_f16_e32 v226, v227, v226
	v_fma_f16 v227, v137, s19, v158
	v_mul_f16_e32 v162, 0x394e, v162
	v_add_f16_e32 v76, v78, v76
	v_sub_f16_e32 v78, v157, v82
	v_add_f16_e32 v64, v132, v64
	v_add_f16_e32 v74, v77, v74
	v_fma_f16 v77, v137, s19, -v158
	v_mul_f16_e32 v86, 0xb3a8, v145
	v_add_f16_e32 v226, v227, v226
	v_fma_f16 v227, v139, s17, v162
	v_mul_f16_e32 v164, 0x3bf1, v164
	v_add_f16_e32 v76, v78, v76
	v_sub_f16_e32 v78, v161, v84
	v_add_f16_e32 v64, v133, v64
	v_add_f16_e32 v74, v77, v74
	v_fma_f16 v77, v139, s17, -v162
	v_add_f16_e32 v226, v227, v226
	v_fma_f16 v227, v141, s14, v164
	v_mul_f16_e32 v167, 0x3770, v167
	v_add_f16_e32 v76, v78, v76
	v_sub_f16_e32 v78, v165, v86
	v_add_f16_e32 v64, v131, v64
	v_add_f16_e32 v74, v77, v74
	v_fma_f16 v77, v141, s14, -v164
	v_add_f16_e32 v226, v227, v226
	v_fma_f16 v227, v143, s12, v167
	v_add_f16_e32 v76, v78, v76
	v_add_f16_e32 v64, v118, v64
	v_add_f16_e32 v74, v77, v74
	v_fma_f16 v77, v143, s12, -v167
	v_add_f16_e32 v226, v227, v226
	v_add_f16_e32 v74, v77, v74
	v_lshl_add_u32 v77, v103, 2, v101
	v_pack_b32_f16 v75, v75, v76
	v_pack_b32_f16 v63, v63, v64
	ds_write2_b32 v77, v63, v75 offset1:1
	v_pack_b32_f16 v63, v219, v212
	v_pack_b32_f16 v64, v226, v225
	ds_write2_b32 v77, v64, v63 offset0:2 offset1:3
	v_pack_b32_f16 v63, v191, v184
	v_pack_b32_f16 v64, v205, v198
	ds_write2_b32 v77, v64, v63 offset0:4 offset1:5
	;; [unrolled: 3-line block ×4, first 2 shown]
	v_pack_b32_f16 v63, v74, v73
	v_pack_b32_f16 v64, v72, v71
	s_mov_b32 s12, 0x5040100
	ds_write2_b32 v77, v64, v63 offset0:10 offset1:11
	v_perm_b32 v63, v120, v119, s12
	ds_write_b32 v77, v63 offset:48
.LBB0_17:
	s_or_b64 exec, exec, s[4:5]
	s_waitcnt lgkmcnt(0)
	s_barrier
	ds_read2_b32 v[63:64], v87 offset1:39
	ds_read2_b32 v[65:66], v87 offset0:156 offset1:195
	v_add_u32_e32 v118, 0x400, v87
	ds_read2_b32 v[67:68], v118 offset0:134 offset1:173
	v_add_u32_e32 v121, 0x800, v87
	ds_read2_b32 v[71:72], v121 offset0:34 offset1:73
	s_waitcnt lgkmcnt(2)
	v_lshrrev_b32_e32 v103, 16, v66
	v_add_u32_e32 v122, 0xc00, v87
	ds_read2_b32 v[73:74], v122 offset0:12 offset1:51
	v_mul_f16_sdwa v147, v0, v103 dst_sel:DWORD dst_unused:UNUSED_PAD src0_sel:WORD_1 src1_sel:DWORD
	s_waitcnt lgkmcnt(2)
	v_lshrrev_b32_e32 v123, 16, v67
	v_add_u32_e32 v70, 0x200, v87
	v_fma_f16 v147, v0, v66, v147
	v_mul_f16_sdwa v66, v0, v66 dst_sel:DWORD dst_unused:UNUSED_PAD src0_sel:WORD_1 src1_sel:DWORD
	ds_read2_b32 v[75:76], v70 offset0:106 offset1:145
	v_fma_f16 v0, v0, v103, -v66
	v_mul_f16_sdwa v66, v1, v123 dst_sel:DWORD dst_unused:UNUSED_PAD src0_sel:WORD_1 src1_sel:DWORD
	s_waitcnt lgkmcnt(2)
	v_lshrrev_b32_e32 v124, 16, v72
	v_fma_f16 v66, v1, v67, v66
	v_mul_f16_sdwa v67, v1, v67 dst_sel:DWORD dst_unused:UNUSED_PAD src0_sel:WORD_1 src1_sel:DWORD
	v_fma_f16 v1, v1, v123, -v67
	v_mul_f16_sdwa v67, v2, v124 dst_sel:DWORD dst_unused:UNUSED_PAD src0_sel:WORD_1 src1_sel:DWORD
	s_waitcnt lgkmcnt(1)
	v_lshrrev_b32_e32 v125, 16, v73
	v_fma_f16 v67, v2, v72, v67
	v_mul_f16_sdwa v72, v2, v72 dst_sel:DWORD dst_unused:UNUSED_PAD src0_sel:WORD_1 src1_sel:DWORD
	ds_read2_b32 v[77:78], v121 offset0:112 offset1:151
	v_fma_f16 v2, v2, v124, -v72
	v_mul_f16_sdwa v72, v3, v125 dst_sel:DWORD dst_unused:UNUSED_PAD src0_sel:WORD_1 src1_sel:DWORD
	s_waitcnt lgkmcnt(1)
	v_lshrrev_b32_e32 v127, 16, v75
	v_fma_f16 v72, v3, v73, v72
	v_mul_f16_sdwa v73, v3, v73 dst_sel:DWORD dst_unused:UNUSED_PAD src0_sel:WORD_1 src1_sel:DWORD
	v_fma_f16 v3, v3, v125, -v73
	v_mul_f16_sdwa v73, v4, v127 dst_sel:DWORD dst_unused:UNUSED_PAD src0_sel:WORD_1 src1_sel:DWORD
	v_lshrrev_b32_e32 v128, 16, v68
	v_fma_f16 v73, v4, v75, v73
	v_mul_f16_sdwa v75, v4, v75 dst_sel:DWORD dst_unused:UNUSED_PAD src0_sel:WORD_1 src1_sel:DWORD
	v_fma_f16 v4, v4, v127, -v75
	v_mul_f16_sdwa v75, v5, v128 dst_sel:DWORD dst_unused:UNUSED_PAD src0_sel:WORD_1 src1_sel:DWORD
	s_waitcnt lgkmcnt(0)
	v_lshrrev_b32_e32 v129, 16, v77
	v_fma_f16 v75, v5, v68, v75
	v_mul_f16_sdwa v68, v5, v68 dst_sel:DWORD dst_unused:UNUSED_PAD src0_sel:WORD_1 src1_sel:DWORD
	ds_read2_b32 v[81:82], v118 offset0:212 offset1:251
	v_fma_f16 v5, v5, v128, -v68
	v_mul_f16_sdwa v68, v6, v129 dst_sel:DWORD dst_unused:UNUSED_PAD src0_sel:WORD_1 src1_sel:DWORD
	v_lshrrev_b32_e32 v130, 16, v74
	v_fma_f16 v68, v6, v77, v68
	v_mul_f16_sdwa v77, v6, v77 dst_sel:DWORD dst_unused:UNUSED_PAD src0_sel:WORD_1 src1_sel:DWORD
	v_fma_f16 v6, v6, v129, -v77
	v_mul_f16_sdwa v77, v7, v130 dst_sel:DWORD dst_unused:UNUSED_PAD src0_sel:WORD_1 src1_sel:DWORD
	v_lshrrev_b32_e32 v132, 16, v76
	v_fma_f16 v77, v7, v74, v77
	v_mul_f16_sdwa v74, v7, v74 dst_sel:DWORD dst_unused:UNUSED_PAD src0_sel:WORD_1 src1_sel:DWORD
	ds_read2_b32 v[83:84], v122 offset0:90 offset1:129
	v_fma_f16 v7, v7, v130, -v74
	v_mul_f16_sdwa v74, v8, v132 dst_sel:DWORD dst_unused:UNUSED_PAD src0_sel:WORD_1 src1_sel:DWORD
	s_waitcnt lgkmcnt(1)
	v_lshrrev_b32_e32 v133, 16, v81
	v_fma_f16 v74, v8, v76, v74
	v_mul_f16_sdwa v76, v8, v76 dst_sel:DWORD dst_unused:UNUSED_PAD src0_sel:WORD_1 src1_sel:DWORD
	ds_read2_b32 v[85:86], v118 offset0:56 offset1:95
	v_fma_f16 v8, v8, v132, -v76
	v_mul_f16_sdwa v76, v9, v133 dst_sel:DWORD dst_unused:UNUSED_PAD src0_sel:WORD_1 src1_sel:DWORD
	v_lshrrev_b32_e32 v134, 16, v78
	v_fma_f16 v76, v9, v81, v76
	v_mul_f16_sdwa v81, v9, v81 dst_sel:DWORD dst_unused:UNUSED_PAD src0_sel:WORD_1 src1_sel:DWORD
	v_fma_f16 v9, v9, v133, -v81
	v_mul_f16_sdwa v81, v10, v134 dst_sel:DWORD dst_unused:UNUSED_PAD src0_sel:WORD_1 src1_sel:DWORD
	s_waitcnt lgkmcnt(1)
	v_lshrrev_b32_e32 v135, 16, v83
	v_fma_f16 v81, v10, v78, v81
	v_mul_f16_sdwa v78, v10, v78 dst_sel:DWORD dst_unused:UNUSED_PAD src0_sel:WORD_1 src1_sel:DWORD
	ds_read2_b32 v[101:102], v121 offset0:190 offset1:229
	v_fma_f16 v10, v10, v134, -v78
	v_mul_f16_sdwa v78, v11, v135 dst_sel:DWORD dst_unused:UNUSED_PAD src0_sel:WORD_1 src1_sel:DWORD
	s_waitcnt lgkmcnt(1)
	v_lshrrev_b32_e32 v137, 16, v85
	v_fma_f16 v78, v11, v83, v78
	v_mul_f16_sdwa v83, v11, v83 dst_sel:DWORD dst_unused:UNUSED_PAD src0_sel:WORD_1 src1_sel:DWORD
	v_fma_f16 v11, v11, v135, -v83
	v_mul_f16_sdwa v83, v12, v137 dst_sel:DWORD dst_unused:UNUSED_PAD src0_sel:WORD_1 src1_sel:DWORD
	v_lshrrev_b32_e32 v138, 16, v82
	v_fma_f16 v83, v12, v85, v83
	v_mul_f16_sdwa v85, v12, v85 dst_sel:DWORD dst_unused:UNUSED_PAD src0_sel:WORD_1 src1_sel:DWORD
	v_fma_f16 v12, v12, v137, -v85
	v_mul_f16_sdwa v85, v13, v138 dst_sel:DWORD dst_unused:UNUSED_PAD src0_sel:WORD_1 src1_sel:DWORD
	s_waitcnt lgkmcnt(0)
	v_lshrrev_b32_e32 v139, 16, v101
	v_fma_f16 v85, v13, v82, v85
	v_mul_f16_sdwa v82, v13, v82 dst_sel:DWORD dst_unused:UNUSED_PAD src0_sel:WORD_1 src1_sel:DWORD
	v_fma_f16 v13, v13, v138, -v82
	v_mul_f16_sdwa v82, v14, v139 dst_sel:DWORD dst_unused:UNUSED_PAD src0_sel:WORD_1 src1_sel:DWORD
	v_lshrrev_b32_e32 v140, 16, v84
	v_fma_f16 v82, v14, v101, v82
	v_mul_f16_sdwa v101, v14, v101 dst_sel:DWORD dst_unused:UNUSED_PAD src0_sel:WORD_1 src1_sel:DWORD
	v_fma_f16 v14, v14, v139, -v101
	v_mul_f16_sdwa v101, v15, v140 dst_sel:DWORD dst_unused:UNUSED_PAD src0_sel:WORD_1 src1_sel:DWORD
	v_lshrrev_b32_e32 v143, 16, v86
	v_fma_f16 v101, v15, v84, v101
	v_mul_f16_sdwa v84, v15, v84 dst_sel:DWORD dst_unused:UNUSED_PAD src0_sel:WORD_1 src1_sel:DWORD
	ds_read_b32 v141, v87 offset:3744
	v_fma_f16 v15, v15, v140, -v84
	v_mul_f16_sdwa v84, v16, v143 dst_sel:DWORD dst_unused:UNUSED_PAD src0_sel:WORD_1 src1_sel:DWORD
	v_lshrrev_b32_e32 v144, 16, v71
	v_fma_f16 v84, v16, v86, v84
	v_mul_f16_sdwa v86, v16, v86 dst_sel:DWORD dst_unused:UNUSED_PAD src0_sel:WORD_1 src1_sel:DWORD
	v_fma_f16 v16, v16, v143, -v86
	v_mul_f16_sdwa v86, v17, v144 dst_sel:DWORD dst_unused:UNUSED_PAD src0_sel:WORD_1 src1_sel:DWORD
	v_lshrrev_b32_e32 v145, 16, v102
	v_fma_f16 v86, v17, v71, v86
	v_mul_f16_sdwa v71, v17, v71 dst_sel:DWORD dst_unused:UNUSED_PAD src0_sel:WORD_1 src1_sel:DWORD
	v_fma_f16 v17, v17, v144, -v71
	v_mul_f16_sdwa v71, v18, v145 dst_sel:DWORD dst_unused:UNUSED_PAD src0_sel:WORD_1 src1_sel:DWORD
	s_waitcnt lgkmcnt(0)
	v_lshrrev_b32_e32 v146, 16, v141
	v_fma_f16 v103, v18, v102, v71
	v_mul_f16_sdwa v71, v18, v102 dst_sel:DWORD dst_unused:UNUSED_PAD src0_sel:WORD_1 src1_sel:DWORD
	v_fma_f16 v18, v18, v145, -v71
	v_mul_f16_sdwa v71, v19, v146 dst_sel:DWORD dst_unused:UNUSED_PAD src0_sel:WORD_1 src1_sel:DWORD
	v_fma_f16 v102, v19, v141, v71
	v_mul_f16_sdwa v71, v19, v141 dst_sel:DWORD dst_unused:UNUSED_PAD src0_sel:WORD_1 src1_sel:DWORD
	v_fma_f16 v19, v19, v146, -v71
	v_add_f16_e32 v71, v63, v147
	v_add_f16_e32 v71, v71, v66
	v_add_f16_e32 v71, v71, v67
	v_add_f16_e32 v123, v71, v72
	v_add_f16_e32 v71, v66, v67
	v_fma_f16 v71, v71, -0.5, v63
	v_sub_f16_e32 v124, v0, v3
	s_mov_b32 s5, 0xbb9c
	s_movk_i32 s13, 0x3b9c
	v_fma_f16 v125, v124, s5, v71
	v_sub_f16_e32 v127, v1, v2
	s_mov_b32 s4, 0xb8b4
	v_sub_f16_e32 v128, v147, v66
	v_sub_f16_e32 v129, v72, v67
	v_fma_f16 v71, v124, s13, v71
	s_movk_i32 s14, 0x38b4
	v_fma_f16 v125, v127, s4, v125
	v_add_f16_e32 v128, v128, v129
	s_movk_i32 s12, 0x34f2
	v_fma_f16 v71, v127, s14, v71
	v_fma_f16 v125, v128, s12, v125
	;; [unrolled: 1-line block ×3, first 2 shown]
	v_add_f16_e32 v71, v147, v72
	v_lshrrev_b32_e32 v69, 16, v63
	v_fma_f16 v63, v71, -0.5, v63
	v_fma_f16 v71, v127, s13, v63
	v_sub_f16_e32 v129, v66, v147
	v_sub_f16_e32 v130, v67, v72
	v_fma_f16 v71, v124, s4, v71
	v_add_f16_e32 v129, v129, v130
	v_fma_f16 v130, v129, s12, v71
	v_add_f16_e32 v71, v69, v0
	v_add_f16_e32 v71, v71, v1
	v_fma_f16 v63, v127, s5, v63
	v_add_f16_e32 v71, v71, v2
	v_fma_f16 v63, v124, s14, v63
	v_add_f16_e32 v124, v71, v3
	v_add_f16_e32 v71, v1, v2
	v_fma_f16 v71, v71, -0.5, v69
	v_sub_f16_e32 v72, v147, v72
	v_fma_f16 v127, v72, s13, v71
	v_sub_f16_e32 v66, v66, v67
	v_fma_f16 v63, v129, s12, v63
	v_fma_f16 v67, v66, s14, v127
	v_sub_f16_e32 v127, v0, v1
	v_sub_f16_e32 v129, v3, v2
	v_fma_f16 v71, v72, s5, v71
	v_add_f16_e32 v127, v127, v129
	v_fma_f16 v71, v66, s4, v71
	v_fma_f16 v67, v127, s12, v67
	;; [unrolled: 1-line block ×3, first 2 shown]
	v_add_f16_e32 v71, v0, v3
	v_fma_f16 v69, v71, -0.5, v69
	v_fma_f16 v71, v66, s5, v69
	v_sub_f16_e32 v0, v1, v0
	v_sub_f16_e32 v1, v2, v3
	v_add_f16_e32 v3, v75, v68
	v_fma_f16 v71, v72, s14, v71
	v_add_f16_e32 v0, v0, v1
	v_fma_f16 v2, v66, s13, v69
	v_fma_f16 v3, v3, -0.5, v64
	v_sub_f16_e32 v66, v4, v7
	v_fma_f16 v1, v0, s12, v71
	v_fma_f16 v2, v72, s4, v2
	;; [unrolled: 1-line block ×3, first 2 shown]
	v_sub_f16_e32 v71, v5, v6
	v_sub_f16_e32 v72, v73, v75
	;; [unrolled: 1-line block ×3, first 2 shown]
	v_fma_f16 v3, v66, s13, v3
	v_fma_f16 v69, v71, s4, v69
	v_add_f16_e32 v72, v72, v129
	v_fma_f16 v3, v71, s14, v3
	v_fma_f16 v69, v72, s12, v69
	;; [unrolled: 1-line block ×3, first 2 shown]
	v_add_f16_e32 v72, v73, v77
	v_lshrrev_b32_e32 v126, 16, v64
	v_fma_f16 v0, v0, s12, v2
	v_add_f16_e32 v2, v64, v73
	v_fma_f16 v64, v72, -0.5, v64
	v_fma_f16 v72, v71, s13, v64
	v_sub_f16_e32 v129, v75, v73
	v_sub_f16_e32 v132, v68, v77
	v_add_f16_e32 v2, v2, v75
	v_fma_f16 v72, v66, s4, v72
	v_add_f16_e32 v129, v129, v132
	v_fma_f16 v64, v71, s5, v64
	v_add_f16_e32 v71, v5, v6
	v_add_f16_e32 v2, v2, v68
	v_fma_f16 v132, v129, s12, v72
	v_fma_f16 v71, v71, -0.5, v126
	v_sub_f16_e32 v72, v73, v77
	ds_read2_b32 v[79:80], v87 offset0:78 offset1:117
	v_add_f16_e32 v2, v2, v77
	v_fma_f16 v73, v72, s13, v71
	v_sub_f16_e32 v68, v75, v68
	v_sub_f16_e32 v75, v4, v5
	;; [unrolled: 1-line block ×3, first 2 shown]
	v_fma_f16 v71, v72, s5, v71
	v_fma_f16 v64, v66, s14, v64
	v_add_f16_e32 v66, v126, v4
	v_fma_f16 v73, v68, s14, v73
	v_add_f16_e32 v75, v75, v77
	;; [unrolled: 2-line block ×3, first 2 shown]
	v_fma_f16 v73, v75, s12, v73
	v_fma_f16 v75, v75, s12, v71
	v_add_f16_e32 v71, v4, v7
	v_add_f16_e32 v66, v66, v6
	v_fma_f16 v71, v71, -0.5, v126
	v_add_f16_e32 v66, v66, v7
	v_fma_f16 v77, v68, s5, v71
	v_sub_f16_e32 v4, v5, v4
	v_sub_f16_e32 v5, v6, v7
	v_add_f16_e32 v7, v76, v81
	v_fma_f16 v77, v72, s14, v77
	v_add_f16_e32 v4, v4, v5
	v_fma_f16 v6, v68, s13, v71
	s_waitcnt lgkmcnt(0)
	v_fma_f16 v7, v7, -0.5, v79
	v_sub_f16_e32 v68, v8, v11
	v_fma_f16 v5, v4, s12, v77
	v_fma_f16 v6, v72, s4, v6
	v_fma_f16 v71, v68, s5, v7
	v_sub_f16_e32 v72, v9, v10
	v_sub_f16_e32 v77, v74, v76
	;; [unrolled: 1-line block ×3, first 2 shown]
	v_fma_f16 v71, v72, s4, v71
	v_add_f16_e32 v77, v77, v126
	v_fma_f16 v126, v77, s12, v71
	v_fma_f16 v7, v68, s13, v7
	v_add_f16_e32 v71, v74, v78
	v_fma_f16 v7, v72, s14, v7
	v_fma_f16 v71, v71, -0.5, v79
	v_lshrrev_b32_e32 v131, 16, v79
	v_fma_f16 v7, v77, s12, v7
	v_fma_f16 v77, v72, s13, v71
	;; [unrolled: 1-line block ×5, first 2 shown]
	v_add_f16_e32 v71, v131, v8
	v_fma_f16 v64, v129, s12, v64
	v_fma_f16 v4, v4, s12, v6
	v_add_f16_e32 v6, v79, v74
	v_sub_f16_e32 v79, v76, v74
	v_sub_f16_e32 v129, v81, v78
	v_add_f16_e32 v71, v71, v9
	v_add_f16_e32 v79, v79, v129
	v_add_f16_e32 v71, v71, v10
	v_add_f16_e32 v6, v6, v76
	v_fma_f16 v77, v79, s12, v77
	v_fma_f16 v68, v79, s12, v68
	v_add_f16_e32 v79, v71, v11
	v_add_f16_e32 v71, v9, v10
	;; [unrolled: 1-line block ×3, first 2 shown]
	v_fma_f16 v71, v71, -0.5, v131
	v_sub_f16_e32 v72, v74, v78
	v_add_f16_e32 v6, v6, v78
	v_fma_f16 v74, v72, s13, v71
	v_sub_f16_e32 v76, v76, v81
	v_sub_f16_e32 v78, v8, v9
	;; [unrolled: 1-line block ×3, first 2 shown]
	v_fma_f16 v71, v72, s5, v71
	v_fma_f16 v74, v76, s14, v74
	v_add_f16_e32 v78, v78, v81
	v_fma_f16 v71, v76, s4, v71
	v_fma_f16 v74, v78, s12, v74
	;; [unrolled: 1-line block ×3, first 2 shown]
	v_add_f16_e32 v71, v8, v11
	v_fma_f16 v71, v71, -0.5, v131
	v_fma_f16 v81, v76, s5, v71
	v_sub_f16_e32 v8, v9, v8
	v_sub_f16_e32 v9, v10, v11
	v_add_f16_e32 v11, v85, v82
	v_fma_f16 v81, v72, s14, v81
	v_add_f16_e32 v8, v8, v9
	v_fma_f16 v10, v76, s13, v71
	v_fma_f16 v11, v11, -0.5, v80
	v_sub_f16_e32 v71, v12, v15
	v_fma_f16 v9, v8, s12, v81
	v_fma_f16 v10, v72, s4, v10
	;; [unrolled: 1-line block ×3, first 2 shown]
	v_sub_f16_e32 v76, v13, v14
	v_sub_f16_e32 v81, v83, v85
	;; [unrolled: 1-line block ×3, first 2 shown]
	v_fma_f16 v72, v76, s4, v72
	v_add_f16_e32 v81, v81, v129
	v_fma_f16 v129, v81, s12, v72
	v_fma_f16 v11, v71, s13, v11
	v_add_f16_e32 v72, v83, v101
	v_fma_f16 v11, v76, s14, v11
	v_fma_f16 v72, v72, -0.5, v80
	v_lshrrev_b32_e32 v136, 16, v80
	v_fma_f16 v8, v8, s12, v10
	v_add_f16_e32 v10, v80, v83
	v_fma_f16 v11, v81, s12, v11
	v_fma_f16 v80, v76, s13, v72
	v_sub_f16_e32 v81, v85, v83
	v_sub_f16_e32 v131, v82, v101
	v_fma_f16 v72, v76, s5, v72
	v_fma_f16 v80, v71, s4, v80
	v_add_f16_e32 v81, v81, v131
	v_fma_f16 v71, v71, s14, v72
	v_fma_f16 v76, v81, s12, v71
	v_add_f16_e32 v71, v136, v12
	v_add_f16_e32 v71, v71, v13
	;; [unrolled: 1-line block ×4, first 2 shown]
	v_fma_f16 v80, v81, s12, v80
	v_add_f16_e32 v81, v71, v15
	v_add_f16_e32 v71, v13, v14
	v_add_f16_e32 v10, v10, v82
	v_fma_f16 v71, v71, -0.5, v136
	v_sub_f16_e32 v72, v83, v101
	v_add_f16_e32 v10, v10, v101
	v_fma_f16 v83, v72, s13, v71
	v_sub_f16_e32 v82, v85, v82
	v_sub_f16_e32 v85, v12, v13
	;; [unrolled: 1-line block ×3, first 2 shown]
	v_fma_f16 v71, v72, s5, v71
	v_fma_f16 v83, v82, s14, v83
	v_add_f16_e32 v85, v85, v101
	v_fma_f16 v71, v82, s4, v71
	v_fma_f16 v83, v85, s12, v83
	;; [unrolled: 1-line block ×3, first 2 shown]
	v_add_f16_e32 v71, v12, v15
	v_fma_f16 v71, v71, -0.5, v136
	v_fma_f16 v101, v82, s5, v71
	v_sub_f16_e32 v12, v13, v12
	v_sub_f16_e32 v13, v14, v15
	v_fma_f16 v14, v82, s13, v71
	v_add_f16_e32 v15, v86, v103
	v_fma_f16 v101, v72, s14, v101
	v_add_f16_e32 v12, v12, v13
	v_fma_f16 v14, v72, s4, v14
	v_fma_f16 v15, v15, -0.5, v65
	v_sub_f16_e32 v72, v16, v19
	v_fma_f16 v13, v12, s12, v101
	v_fma_f16 v71, v72, s5, v15
	v_sub_f16_e32 v82, v17, v18
	v_sub_f16_e32 v101, v84, v86
	;; [unrolled: 1-line block ×3, first 2 shown]
	v_fma_f16 v15, v72, s13, v15
	v_fma_f16 v71, v82, s4, v71
	v_add_f16_e32 v101, v101, v131
	v_fma_f16 v15, v82, s14, v15
	v_fma_f16 v131, v101, s12, v71
	;; [unrolled: 1-line block ×3, first 2 shown]
	v_add_f16_e32 v15, v84, v102
	v_fma_f16 v15, v15, -0.5, v65
	v_lshrrev_b32_e32 v142, 16, v65
	v_fma_f16 v12, v12, s12, v14
	v_add_f16_e32 v14, v65, v84
	v_fma_f16 v65, v82, s13, v15
	v_fma_f16 v15, v82, s5, v15
	;; [unrolled: 1-line block ×4, first 2 shown]
	v_add_f16_e32 v72, v142, v16
	v_add_f16_e32 v72, v72, v17
	;; [unrolled: 1-line block ×4, first 2 shown]
	v_sub_f16_e32 v101, v86, v84
	v_sub_f16_e32 v133, v103, v102
	v_add_f16_e32 v82, v72, v19
	v_add_f16_e32 v72, v17, v18
	;; [unrolled: 1-line block ×4, first 2 shown]
	v_fma_f16 v72, v72, -0.5, v142
	v_sub_f16_e32 v84, v84, v102
	v_add_f16_e32 v14, v14, v102
	v_fma_f16 v65, v101, s12, v65
	v_fma_f16 v15, v101, s12, v15
	v_fma_f16 v101, v84, s13, v72
	v_sub_f16_e32 v86, v86, v103
	v_sub_f16_e32 v102, v16, v17
	;; [unrolled: 1-line block ×3, first 2 shown]
	v_fma_f16 v72, v84, s5, v72
	v_fma_f16 v101, v86, s14, v101
	v_add_f16_e32 v102, v102, v103
	v_fma_f16 v72, v86, s4, v72
	v_fma_f16 v101, v102, s12, v101
	;; [unrolled: 1-line block ×3, first 2 shown]
	v_add_f16_e32 v102, v16, v19
	v_fma_f16 v102, v102, -0.5, v142
	v_fma_f16 v103, v86, s5, v102
	v_sub_f16_e32 v16, v17, v16
	v_sub_f16_e32 v17, v18, v19
	v_fma_f16 v18, v86, s13, v102
	v_pack_b32_f16 v1, v130, v1
	v_pack_b32_f16 v0, v63, v0
	v_fma_f16 v103, v84, s14, v103
	v_add_f16_e32 v16, v16, v17
	v_fma_f16 v18, v84, s4, v18
	s_barrier
	ds_write2_b32 v104, v1, v0 offset0:26 offset1:39
	v_pack_b32_f16 v0, v128, v127
	v_fma_f16 v17, v16, s12, v103
	v_fma_f16 v16, v16, s12, v18
	v_pack_b32_f16 v18, v123, v124
	v_pack_b32_f16 v19, v125, v67
	ds_write_b32 v104, v0 offset:208
	v_pack_b32_f16 v0, v2, v66
	v_pack_b32_f16 v1, v69, v73
	ds_write2_b32 v104, v18, v19 offset1:13
	ds_write2_b32 v105, v0, v1 offset1:13
	v_pack_b32_f16 v0, v132, v5
	v_pack_b32_f16 v1, v64, v4
	ds_write2_b32 v105, v0, v1 offset0:26 offset1:39
	v_pack_b32_f16 v0, v3, v75
	ds_write_b32 v105, v0 offset:208
	v_pack_b32_f16 v0, v6, v79
	v_pack_b32_f16 v1, v126, v74
	ds_write2_b32 v106, v0, v1 offset1:13
	v_pack_b32_f16 v0, v77, v9
	v_pack_b32_f16 v1, v68, v8
	ds_write2_b32 v106, v0, v1 offset0:26 offset1:39
	v_pack_b32_f16 v0, v7, v78
	ds_write_b32 v106, v0 offset:208
	v_pack_b32_f16 v0, v10, v81
	v_pack_b32_f16 v1, v129, v83
	ds_write2_b32 v107, v0, v1 offset1:13
	v_pack_b32_f16 v0, v80, v13
	v_pack_b32_f16 v1, v76, v12
	ds_write2_b32 v107, v0, v1 offset0:26 offset1:39
	v_pack_b32_f16 v0, v11, v85
	ds_write_b32 v107, v0 offset:208
	v_pack_b32_f16 v0, v14, v82
	v_pack_b32_f16 v1, v131, v101
	ds_write2_b32 v108, v0, v1 offset1:13
	v_pack_b32_f16 v0, v65, v17
	v_pack_b32_f16 v1, v15, v16
	ds_write2_b32 v108, v0, v1 offset0:26 offset1:39
	v_pack_b32_f16 v0, v71, v72
	ds_write_b32 v108, v0 offset:208
	s_waitcnt lgkmcnt(0)
	s_barrier
	ds_read2_b32 v[6:7], v87 offset1:39
	ds_read2_b32 v[65:66], v118 offset0:69 offset1:108
	ds_read2_b32 v[63:64], v121 offset0:138 offset1:177
	;; [unrolled: 1-line block ×6, first 2 shown]
	v_add_u32_e32 v0, 0x600, v87
	ds_read2_b32 v[14:15], v0 offset0:97 offset1:136
	ds_read2_b32 v[12:13], v122 offset0:38 offset1:77
	;; [unrolled: 1-line block ×5, first 2 shown]
	s_and_saveexec_b64 s[4:5], s[2:3]
	s_cbranch_execz .LBB0_19
; %bb.18:
	ds_read_b32 v71, v87 offset:1248
	ds_read_b32 v119, v87 offset:2548
	;; [unrolled: 1-line block ×3, first 2 shown]
	s_waitcnt lgkmcnt(2)
	v_lshrrev_b32_e32 v72, 16, v71
	s_waitcnt lgkmcnt(1)
	v_lshrrev_b32_e32 v120, 16, v119
	s_waitcnt lgkmcnt(0)
	v_lshrrev_b32_e32 v109, 16, v43
.LBB0_19:
	s_or_b64 exec, exec, s[4:5]
	s_waitcnt lgkmcnt(10)
	v_lshrrev_b32_e32 v74, 16, v65
	v_mul_f16_sdwa v121, v47, v74 dst_sel:DWORD dst_unused:UNUSED_PAD src0_sel:WORD_1 src1_sel:DWORD
	s_waitcnt lgkmcnt(9)
	v_lshrrev_b32_e32 v75, 16, v63
	v_fma_f16 v121, v47, v65, v121
	v_mul_f16_sdwa v65, v47, v65 dst_sel:DWORD dst_unused:UNUSED_PAD src0_sel:WORD_1 src1_sel:DWORD
	v_fma_f16 v47, v47, v74, -v65
	v_mul_f16_sdwa v65, v48, v75 dst_sel:DWORD dst_unused:UNUSED_PAD src0_sel:WORD_1 src1_sel:DWORD
	v_lshrrev_b32_e32 v77, 16, v66
	v_fma_f16 v65, v48, v63, v65
	v_mul_f16_sdwa v63, v48, v63 dst_sel:DWORD dst_unused:UNUSED_PAD src0_sel:WORD_1 src1_sel:DWORD
	v_fma_f16 v48, v48, v75, -v63
	v_mul_f16_sdwa v63, v51, v77 dst_sel:DWORD dst_unused:UNUSED_PAD src0_sel:WORD_1 src1_sel:DWORD
	v_lshrrev_b32_e32 v78, 16, v64
	v_fma_f16 v63, v51, v66, v63
	v_mul_f16_sdwa v66, v51, v66 dst_sel:DWORD dst_unused:UNUSED_PAD src0_sel:WORD_1 src1_sel:DWORD
	v_fma_f16 v51, v51, v77, -v66
	v_mul_f16_sdwa v66, v52, v78 dst_sel:DWORD dst_unused:UNUSED_PAD src0_sel:WORD_1 src1_sel:DWORD
	s_waitcnt lgkmcnt(7)
	v_lshrrev_b32_e32 v80, 16, v18
	v_fma_f16 v66, v52, v64, v66
	v_mul_f16_sdwa v64, v52, v64 dst_sel:DWORD dst_unused:UNUSED_PAD src0_sel:WORD_1 src1_sel:DWORD
	v_fma_f16 v52, v52, v78, -v64
	v_mul_f16_sdwa v64, v53, v80 dst_sel:DWORD dst_unused:UNUSED_PAD src0_sel:WORD_1 src1_sel:DWORD
	s_waitcnt lgkmcnt(6)
	v_lshrrev_b32_e32 v81, 16, v16
	v_fma_f16 v64, v53, v18, v64
	v_mul_f16_sdwa v18, v53, v18 dst_sel:DWORD dst_unused:UNUSED_PAD src0_sel:WORD_1 src1_sel:DWORD
	v_fma_f16 v18, v53, v80, -v18
	v_mul_f16_sdwa v53, v54, v81 dst_sel:DWORD dst_unused:UNUSED_PAD src0_sel:WORD_1 src1_sel:DWORD
	v_lshrrev_b32_e32 v83, 16, v19
	v_fma_f16 v53, v54, v16, v53
	v_mul_f16_sdwa v16, v54, v16 dst_sel:DWORD dst_unused:UNUSED_PAD src0_sel:WORD_1 src1_sel:DWORD
	v_fma_f16 v16, v54, v81, -v16
	v_mul_f16_sdwa v54, v49, v83 dst_sel:DWORD dst_unused:UNUSED_PAD src0_sel:WORD_1 src1_sel:DWORD
	v_lshrrev_b32_e32 v84, 16, v17
	v_fma_f16 v54, v49, v19, v54
	v_mul_f16_sdwa v19, v49, v19 dst_sel:DWORD dst_unused:UNUSED_PAD src0_sel:WORD_1 src1_sel:DWORD
	v_fma_f16 v19, v49, v83, -v19
	v_mul_f16_sdwa v49, v50, v84 dst_sel:DWORD dst_unused:UNUSED_PAD src0_sel:WORD_1 src1_sel:DWORD
	s_waitcnt lgkmcnt(4)
	v_lshrrev_b32_e32 v86, 16, v14
	v_fma_f16 v49, v50, v17, v49
	v_mul_f16_sdwa v17, v50, v17 dst_sel:DWORD dst_unused:UNUSED_PAD src0_sel:WORD_1 src1_sel:DWORD
	v_fma_f16 v17, v50, v84, -v17
	v_mul_f16_sdwa v50, v57, v86 dst_sel:DWORD dst_unused:UNUSED_PAD src0_sel:WORD_1 src1_sel:DWORD
	s_waitcnt lgkmcnt(3)
	v_lshrrev_b32_e32 v101, 16, v12
	v_fma_f16 v50, v57, v14, v50
	v_mul_f16_sdwa v14, v57, v14 dst_sel:DWORD dst_unused:UNUSED_PAD src0_sel:WORD_1 src1_sel:DWORD
	v_fma_f16 v14, v57, v86, -v14
	v_mul_f16_sdwa v57, v58, v101 dst_sel:DWORD dst_unused:UNUSED_PAD src0_sel:WORD_1 src1_sel:DWORD
	v_lshrrev_b32_e32 v103, 16, v15
	v_fma_f16 v57, v58, v12, v57
	v_mul_f16_sdwa v12, v58, v12 dst_sel:DWORD dst_unused:UNUSED_PAD src0_sel:WORD_1 src1_sel:DWORD
	v_fma_f16 v12, v58, v101, -v12
	v_mul_f16_sdwa v58, v55, v103 dst_sel:DWORD dst_unused:UNUSED_PAD src0_sel:WORD_1 src1_sel:DWORD
	v_lshrrev_b32_e32 v104, 16, v13
	v_fma_f16 v58, v55, v15, v58
	v_mul_f16_sdwa v15, v55, v15 dst_sel:DWORD dst_unused:UNUSED_PAD src0_sel:WORD_1 src1_sel:DWORD
	v_fma_f16 v15, v55, v103, -v15
	v_mul_f16_sdwa v55, v56, v104 dst_sel:DWORD dst_unused:UNUSED_PAD src0_sel:WORD_1 src1_sel:DWORD
	s_waitcnt lgkmcnt(1)
	v_lshrrev_b32_e32 v106, 16, v10
	v_fma_f16 v55, v56, v13, v55
	v_mul_f16_sdwa v13, v56, v13 dst_sel:DWORD dst_unused:UNUSED_PAD src0_sel:WORD_1 src1_sel:DWORD
	v_fma_f16 v13, v56, v104, -v13
	v_mul_f16_sdwa v56, v59, v106 dst_sel:DWORD dst_unused:UNUSED_PAD src0_sel:WORD_1 src1_sel:DWORD
	s_waitcnt lgkmcnt(0)
	v_lshrrev_b32_e32 v107, 16, v8
	v_fma_f16 v56, v59, v10, v56
	v_mul_f16_sdwa v10, v59, v10 dst_sel:DWORD dst_unused:UNUSED_PAD src0_sel:WORD_1 src1_sel:DWORD
	v_fma_f16 v10, v59, v106, -v10
	v_mul_f16_sdwa v59, v60, v107 dst_sel:DWORD dst_unused:UNUSED_PAD src0_sel:WORD_1 src1_sel:DWORD
	v_add_u32_e32 v69, 0x138, v117
	v_add_u32_e32 v68, 0x1d4, v117
	;; [unrolled: 1-line block ×3, first 2 shown]
	v_lshrrev_b32_e32 v117, 16, v11
	v_fma_f16 v59, v60, v8, v59
	v_mul_f16_sdwa v8, v60, v8 dst_sel:DWORD dst_unused:UNUSED_PAD src0_sel:WORD_1 src1_sel:DWORD
	v_fma_f16 v8, v60, v107, -v8
	v_mul_f16_sdwa v60, v61, v117 dst_sel:DWORD dst_unused:UNUSED_PAD src0_sel:WORD_1 src1_sel:DWORD
	v_lshrrev_b32_e32 v118, 16, v9
	v_fma_f16 v60, v61, v11, v60
	v_mul_f16_sdwa v11, v61, v11 dst_sel:DWORD dst_unused:UNUSED_PAD src0_sel:WORD_1 src1_sel:DWORD
	v_fma_f16 v11, v61, v117, -v11
	v_mul_f16_sdwa v61, v62, v118 dst_sel:DWORD dst_unused:UNUSED_PAD src0_sel:WORD_1 src1_sel:DWORD
	v_fma_f16 v61, v62, v9, v61
	v_mul_f16_sdwa v9, v62, v9 dst_sel:DWORD dst_unused:UNUSED_PAD src0_sel:WORD_1 src1_sel:DWORD
	v_add_f16_e32 v74, v121, v65
	v_lshrrev_b32_e32 v73, 16, v6
	v_fma_f16 v9, v62, v118, -v9
	v_add_f16_e32 v62, v6, v121
	v_fma_f16 v6, v74, -0.5, v6
	v_sub_f16_e32 v74, v47, v48
	s_mov_b32 s12, 0xbaee
	s_movk_i32 s13, 0x3aee
	v_fma_f16 v75, v74, s12, v6
	v_fma_f16 v6, v74, s13, v6
	v_add_f16_e32 v74, v73, v47
	v_add_f16_e32 v47, v47, v48
	v_add_f16_e32 v74, v74, v48
	v_fma_f16 v47, v47, -0.5, v73
	v_sub_f16_e32 v48, v121, v65
	v_add_f16_e32 v73, v63, v66
	v_lshrrev_b32_e32 v76, 16, v7
	v_add_f16_e32 v62, v62, v65
	v_fma_f16 v65, v48, s13, v47
	v_fma_f16 v47, v48, s12, v47
	v_add_f16_e32 v48, v7, v63
	v_fma_f16 v7, v73, -0.5, v7
	v_sub_f16_e32 v73, v51, v52
	v_fma_f16 v77, v73, s12, v7
	v_fma_f16 v7, v73, s13, v7
	v_add_f16_e32 v73, v76, v51
	v_add_f16_e32 v51, v51, v52
	;; [unrolled: 1-line block ×4, first 2 shown]
	v_fma_f16 v51, v51, -0.5, v76
	v_sub_f16_e32 v52, v63, v66
	v_add_f16_e32 v66, v64, v53
	v_lshrrev_b32_e32 v79, 16, v4
	v_fma_f16 v63, v52, s13, v51
	v_fma_f16 v51, v52, s12, v51
	v_add_f16_e32 v52, v4, v64
	v_fma_f16 v4, v66, -0.5, v4
	v_sub_f16_e32 v66, v18, v16
	v_fma_f16 v76, v66, s12, v4
	v_fma_f16 v4, v66, s13, v4
	v_add_f16_e32 v66, v79, v18
	v_add_f16_e32 v66, v66, v16
	;; [unrolled: 1-line block ×3, first 2 shown]
	v_fma_f16 v16, v16, -0.5, v79
	v_sub_f16_e32 v18, v64, v53
	v_add_f16_e32 v64, v54, v49
	v_lshrrev_b32_e32 v82, 16, v5
	v_add_f16_e32 v52, v52, v53
	v_fma_f16 v53, v18, s13, v16
	v_fma_f16 v16, v18, s12, v16
	v_add_f16_e32 v18, v5, v54
	v_fma_f16 v5, v64, -0.5, v5
	v_sub_f16_e32 v64, v19, v17
	v_fma_f16 v78, v64, s12, v5
	v_fma_f16 v5, v64, s13, v5
	v_add_f16_e32 v64, v82, v19
	v_add_f16_e32 v64, v64, v17
	v_add_f16_e32 v17, v19, v17
	v_fma_f16 v17, v17, -0.5, v82
	v_sub_f16_e32 v19, v54, v49
	v_add_f16_e32 v54, v50, v57
	v_lshrrev_b32_e32 v85, 16, v2
	v_add_f16_e32 v18, v18, v49
	v_fma_f16 v49, v19, s13, v17
	v_fma_f16 v17, v19, s12, v17
	v_add_f16_e32 v19, v2, v50
	v_fma_f16 v2, v54, -0.5, v2
	v_sub_f16_e32 v54, v14, v12
	v_fma_f16 v79, v54, s12, v2
	v_fma_f16 v2, v54, s13, v2
	v_add_f16_e32 v54, v85, v14
	v_add_f16_e32 v54, v54, v12
	;; [unrolled: 1-line block ×4, first 2 shown]
	v_fma_f16 v12, v12, -0.5, v85
	v_sub_f16_e32 v14, v50, v57
	v_add_f16_e32 v57, v58, v55
	v_lshrrev_b32_e32 v102, 16, v3
	v_fma_f16 v50, v14, s13, v12
	v_fma_f16 v12, v14, s12, v12
	v_add_f16_e32 v14, v3, v58
	v_fma_f16 v3, v57, -0.5, v3
	v_sub_f16_e32 v57, v15, v13
	v_fma_f16 v80, v57, s12, v3
	v_fma_f16 v3, v57, s13, v3
	v_add_f16_e32 v57, v102, v15
	v_add_f16_e32 v57, v57, v13
	;; [unrolled: 1-line block ×3, first 2 shown]
	v_fma_f16 v13, v13, -0.5, v102
	v_sub_f16_e32 v15, v58, v55
	v_add_f16_e32 v58, v56, v59
	v_lshrrev_b32_e32 v105, 16, v0
	v_add_f16_e32 v14, v14, v55
	v_fma_f16 v55, v15, s13, v13
	v_fma_f16 v13, v15, s12, v13
	v_add_f16_e32 v15, v0, v56
	v_fma_f16 v0, v58, -0.5, v0
	v_sub_f16_e32 v58, v10, v8
	v_fma_f16 v81, v58, s12, v0
	v_fma_f16 v0, v58, s13, v0
	v_add_f16_e32 v58, v105, v10
	v_add_f16_e32 v58, v58, v8
	;; [unrolled: 1-line block ×4, first 2 shown]
	v_fma_f16 v8, v8, -0.5, v105
	v_sub_f16_e32 v10, v56, v59
	v_add_f16_e32 v59, v60, v61
	v_lshrrev_b32_e32 v108, 16, v1
	v_fma_f16 v56, v10, s13, v8
	v_fma_f16 v8, v10, s12, v8
	v_add_f16_e32 v10, v1, v60
	v_fma_f16 v1, v59, -0.5, v1
	v_sub_f16_e32 v59, v11, v9
	v_fma_f16 v82, v59, s12, v1
	v_fma_f16 v1, v59, s13, v1
	v_add_f16_e32 v59, v108, v11
	v_add_f16_e32 v59, v59, v9
	;; [unrolled: 1-line block ×3, first 2 shown]
	v_fma_f16 v9, v9, -0.5, v108
	v_sub_f16_e32 v11, v60, v61
	v_add_f16_e32 v10, v10, v61
	v_fma_f16 v60, v11, s13, v9
	v_fma_f16 v9, v11, s12, v9
	v_pack_b32_f16 v11, v62, v74
	v_pack_b32_f16 v61, v75, v65
	;; [unrolled: 1-line block ×3, first 2 shown]
	s_barrier
	ds_write2_b32 v87, v11, v61 offset1:65
	ds_write_b32 v87, v6 offset:520
	v_pack_b32_f16 v6, v48, v73
	v_pack_b32_f16 v11, v77, v63
	ds_write2_b32 v111, v6, v11 offset1:65
	v_pack_b32_f16 v6, v7, v51
	ds_write_b32 v111, v6 offset:520
	v_pack_b32_f16 v6, v52, v66
	v_pack_b32_f16 v7, v76, v53
	v_pack_b32_f16 v4, v4, v16
	ds_write2_b32 v70, v6, v7 offset0:80 offset1:145
	ds_write_b32 v87, v4 offset:1352
	v_pack_b32_f16 v4, v18, v64
	v_pack_b32_f16 v6, v78, v49
	ds_write2_b32 v112, v4, v6 offset1:65
	v_pack_b32_f16 v4, v5, v17
	ds_write_b32 v112, v4 offset:520
	v_pack_b32_f16 v4, v19, v54
	v_pack_b32_f16 v5, v79, v50
	v_add_u32_e32 v6, 0x400, v113
	v_pack_b32_f16 v2, v2, v12
	ds_write2_b32 v6, v4, v5 offset0:134 offset1:199
	ds_write_b32 v113, v2 offset:2080
	v_pack_b32_f16 v2, v14, v57
	v_pack_b32_f16 v4, v80, v55
	v_add_u32_e32 v5, 0x800, v114
	ds_write2_b32 v5, v2, v4 offset0:73 offset1:138
	v_pack_b32_f16 v2, v3, v13
	ds_write_b32 v114, v2 offset:2860
	v_pack_b32_f16 v2, v15, v58
	v_pack_b32_f16 v3, v81, v56
	v_pack_b32_f16 v0, v0, v8
	ds_write2_b32 v115, v2, v3 offset1:65
	ds_write_b32 v115, v0 offset:520
	v_pack_b32_f16 v0, v10, v59
	v_pack_b32_f16 v2, v82, v60
	v_add_u32_e32 v3, 0xc00, v116
	ds_write2_b32 v3, v0, v2 offset0:12 offset1:77
	v_pack_b32_f16 v0, v1, v9
	ds_write_b32 v116, v0 offset:3640
	s_and_saveexec_b64 s[4:5], s[2:3]
	s_cbranch_execz .LBB0_21
; %bb.20:
	v_mul_f16_sdwa v0, v45, v119 dst_sel:DWORD dst_unused:UNUSED_PAD src0_sel:WORD_1 src1_sel:DWORD
	v_mul_f16_sdwa v1, v46, v43 dst_sel:DWORD dst_unused:UNUSED_PAD src0_sel:WORD_1 src1_sel:DWORD
	v_fma_f16 v0, v45, v120, -v0
	v_fma_f16 v1, v46, v109, -v1
	v_mul_f16_sdwa v3, v45, v120 dst_sel:DWORD dst_unused:UNUSED_PAD src0_sel:WORD_1 src1_sel:DWORD
	v_mul_f16_sdwa v4, v46, v109 dst_sel:DWORD dst_unused:UNUSED_PAD src0_sel:WORD_1 src1_sel:DWORD
	v_add_f16_e32 v2, v0, v1
	v_fma_f16 v3, v45, v119, v3
	v_fma_f16 v4, v46, v43, v4
	v_fma_f16 v2, v2, -0.5, v72
	v_sub_f16_e32 v5, v3, v4
	v_add_f16_e32 v7, v3, v4
	v_fma_f16 v6, v5, s12, v2
	v_fma_f16 v2, v5, s13, v2
	v_add_f16_e32 v5, v72, v0
	v_fma_f16 v7, v7, -0.5, v71
	v_sub_f16_e32 v0, v0, v1
	v_add_f16_e32 v3, v71, v3
	v_add_f16_e32 v5, v5, v1
	v_fma_f16 v1, v0, s13, v7
	v_fma_f16 v0, v0, s12, v7
	v_add_f16_e32 v3, v3, v4
	v_pack_b32_f16 v3, v3, v5
	v_pack_b32_f16 v0, v0, v2
	v_add_u32_e32 v2, 0xc00, v110
	ds_write2_b32 v2, v3, v0 offset0:12 offset1:77
	v_pack_b32_f16 v0, v1, v6
	ds_write_b32 v110, v0 offset:3640
.LBB0_21:
	s_or_b64 exec, exec, s[4:5]
	s_waitcnt lgkmcnt(0)
	s_barrier
	ds_read2_b32 v[0:1], v87 offset1:39
	ds_read2_b32 v[8:9], v87 offset0:156 offset1:195
	v_add_u32_e32 v5, 0x400, v87
	v_add_u32_e32 v4, 0x800, v87
	ds_read2_b32 v[10:11], v5 offset0:134 offset1:173
	ds_read2_b32 v[12:13], v4 offset0:34 offset1:73
	v_add_u32_e32 v2, 0xc00, v87
	v_add_u32_e32 v7, 0x200, v87
	ds_read2_b32 v[14:15], v2 offset0:12 offset1:51
	ds_read2_b32 v[16:17], v7 offset0:106 offset1:145
	s_waitcnt lgkmcnt(4)
	v_lshrrev_b32_e32 v6, 16, v9
	ds_read2_b32 v[18:19], v4 offset0:112 offset1:151
	v_mul_f16_sdwa v81, v20, v6 dst_sel:DWORD dst_unused:UNUSED_PAD src0_sel:WORD_1 src1_sel:DWORD
	s_waitcnt lgkmcnt(4)
	v_lshrrev_b32_e32 v43, 16, v10
	s_waitcnt lgkmcnt(3)
	v_lshrrev_b32_e32 v55, 16, v13
	v_fma_f16 v81, v20, v9, v81
	v_mul_f16_sdwa v9, v20, v9 dst_sel:DWORD dst_unused:UNUSED_PAD src0_sel:WORD_1 src1_sel:DWORD
	v_fma_f16 v6, v20, v6, -v9
	v_mul_f16_sdwa v9, v21, v43 dst_sel:DWORD dst_unused:UNUSED_PAD src0_sel:WORD_1 src1_sel:DWORD
	v_mul_f16_sdwa v20, v22, v55 dst_sel:DWORD dst_unused:UNUSED_PAD src0_sel:WORD_1 src1_sel:DWORD
	s_waitcnt lgkmcnt(2)
	v_lshrrev_b32_e32 v56, 16, v14
	s_waitcnt lgkmcnt(1)
	v_lshrrev_b32_e32 v58, 16, v16
	v_fma_f16 v9, v21, v10, v9
	v_mul_f16_sdwa v10, v21, v10 dst_sel:DWORD dst_unused:UNUSED_PAD src0_sel:WORD_1 src1_sel:DWORD
	v_fma_f16 v20, v22, v13, v20
	v_mul_f16_sdwa v13, v22, v13 dst_sel:DWORD dst_unused:UNUSED_PAD src0_sel:WORD_1 src1_sel:DWORD
	ds_read2_b32 v[47:48], v5 offset0:212 offset1:251
	v_fma_f16 v10, v21, v43, -v10
	v_fma_f16 v13, v22, v55, -v13
	v_mul_f16_sdwa v21, v23, v56 dst_sel:DWORD dst_unused:UNUSED_PAD src0_sel:WORD_1 src1_sel:DWORD
	v_mul_f16_sdwa v22, v24, v58 dst_sel:DWORD dst_unused:UNUSED_PAD src0_sel:WORD_1 src1_sel:DWORD
	v_lshrrev_b32_e32 v59, 16, v11
	s_waitcnt lgkmcnt(1)
	v_lshrrev_b32_e32 v60, 16, v18
	v_fma_f16 v21, v23, v14, v21
	v_mul_f16_sdwa v14, v23, v14 dst_sel:DWORD dst_unused:UNUSED_PAD src0_sel:WORD_1 src1_sel:DWORD
	v_fma_f16 v22, v24, v16, v22
	v_mul_f16_sdwa v16, v24, v16 dst_sel:DWORD dst_unused:UNUSED_PAD src0_sel:WORD_1 src1_sel:DWORD
	v_fma_f16 v14, v23, v56, -v14
	v_fma_f16 v16, v24, v58, -v16
	v_mul_f16_sdwa v23, v25, v59 dst_sel:DWORD dst_unused:UNUSED_PAD src0_sel:WORD_1 src1_sel:DWORD
	v_mul_f16_sdwa v24, v26, v60 dst_sel:DWORD dst_unused:UNUSED_PAD src0_sel:WORD_1 src1_sel:DWORD
	v_lshrrev_b32_e32 v61, 16, v15
	v_lshrrev_b32_e32 v63, 16, v17
	ds_read2_b32 v[49:50], v2 offset0:90 offset1:129
	v_fma_f16 v23, v25, v11, v23
	v_mul_f16_sdwa v11, v25, v11 dst_sel:DWORD dst_unused:UNUSED_PAD src0_sel:WORD_1 src1_sel:DWORD
	v_fma_f16 v24, v26, v18, v24
	v_mul_f16_sdwa v18, v26, v18 dst_sel:DWORD dst_unused:UNUSED_PAD src0_sel:WORD_1 src1_sel:DWORD
	ds_read2_b32 v[51:52], v5 offset0:56 offset1:95
	v_fma_f16 v11, v25, v59, -v11
	v_fma_f16 v18, v26, v60, -v18
	v_mul_f16_sdwa v25, v27, v61 dst_sel:DWORD dst_unused:UNUSED_PAD src0_sel:WORD_1 src1_sel:DWORD
	v_mul_f16_sdwa v26, v28, v63 dst_sel:DWORD dst_unused:UNUSED_PAD src0_sel:WORD_1 src1_sel:DWORD
	s_waitcnt lgkmcnt(2)
	v_lshrrev_b32_e32 v64, 16, v47
	v_fma_f16 v25, v27, v15, v25
	v_mul_f16_sdwa v15, v27, v15 dst_sel:DWORD dst_unused:UNUSED_PAD src0_sel:WORD_1 src1_sel:DWORD
	v_fma_f16 v26, v28, v17, v26
	v_mul_f16_sdwa v17, v28, v17 dst_sel:DWORD dst_unused:UNUSED_PAD src0_sel:WORD_1 src1_sel:DWORD
	v_lshrrev_b32_e32 v65, 16, v19
	v_fma_f16 v15, v27, v61, -v15
	v_fma_f16 v17, v28, v63, -v17
	v_mul_f16_sdwa v27, v29, v64 dst_sel:DWORD dst_unused:UNUSED_PAD src0_sel:WORD_1 src1_sel:DWORD
	v_mul_f16_sdwa v28, v29, v47 dst_sel:DWORD dst_unused:UNUSED_PAD src0_sel:WORD_1 src1_sel:DWORD
	ds_read2_b32 v[53:54], v4 offset0:190 offset1:229
	v_fma_f16 v27, v29, v47, v27
	v_fma_f16 v28, v29, v64, -v28
	v_mul_f16_sdwa v29, v30, v65 dst_sel:DWORD dst_unused:UNUSED_PAD src0_sel:WORD_1 src1_sel:DWORD
	s_waitcnt lgkmcnt(2)
	v_lshrrev_b32_e32 v66, 16, v49
	v_fma_f16 v29, v30, v19, v29
	v_mul_f16_sdwa v19, v30, v19 dst_sel:DWORD dst_unused:UNUSED_PAD src0_sel:WORD_1 src1_sel:DWORD
	s_waitcnt lgkmcnt(1)
	v_lshrrev_b32_e32 v71, 16, v51
	v_fma_f16 v19, v30, v65, -v19
	v_mul_f16_sdwa v30, v31, v66 dst_sel:DWORD dst_unused:UNUSED_PAD src0_sel:WORD_1 src1_sel:DWORD
	v_mul_f16_sdwa v43, v31, v49 dst_sel:DWORD dst_unused:UNUSED_PAD src0_sel:WORD_1 src1_sel:DWORD
	v_lshrrev_b32_e32 v72, 16, v48
	v_fma_f16 v30, v31, v49, v30
	v_fma_f16 v31, v31, v66, -v43
	v_mul_f16_sdwa v43, v36, v71 dst_sel:DWORD dst_unused:UNUSED_PAD src0_sel:WORD_1 src1_sel:DWORD
	v_mul_f16_sdwa v47, v36, v51 dst_sel:DWORD dst_unused:UNUSED_PAD src0_sel:WORD_1 src1_sel:DWORD
	v_fma_f16 v43, v36, v51, v43
	v_fma_f16 v36, v36, v71, -v47
	v_mul_f16_sdwa v47, v37, v72 dst_sel:DWORD dst_unused:UNUSED_PAD src0_sel:WORD_1 src1_sel:DWORD
	s_waitcnt lgkmcnt(0)
	v_lshrrev_b32_e32 v73, 16, v53
	v_fma_f16 v47, v37, v48, v47
	v_mul_f16_sdwa v48, v37, v48 dst_sel:DWORD dst_unused:UNUSED_PAD src0_sel:WORD_1 src1_sel:DWORD
	v_lshrrev_b32_e32 v74, 16, v50
	v_fma_f16 v37, v37, v72, -v48
	v_mul_f16_sdwa v48, v38, v73 dst_sel:DWORD dst_unused:UNUSED_PAD src0_sel:WORD_1 src1_sel:DWORD
	v_mul_f16_sdwa v49, v38, v53 dst_sel:DWORD dst_unused:UNUSED_PAD src0_sel:WORD_1 src1_sel:DWORD
	v_fma_f16 v48, v38, v53, v48
	v_fma_f16 v38, v38, v73, -v49
	v_mul_f16_sdwa v49, v39, v74 dst_sel:DWORD dst_unused:UNUSED_PAD src0_sel:WORD_1 src1_sel:DWORD
	v_lshrrev_b32_e32 v77, 16, v52
	v_fma_f16 v49, v39, v50, v49
	v_mul_f16_sdwa v50, v39, v50 dst_sel:DWORD dst_unused:UNUSED_PAD src0_sel:WORD_1 src1_sel:DWORD
	v_lshrrev_b32_e32 v78, 16, v12
	v_fma_f16 v39, v39, v74, -v50
	v_mul_f16_sdwa v50, v32, v77 dst_sel:DWORD dst_unused:UNUSED_PAD src0_sel:WORD_1 src1_sel:DWORD
	v_mul_f16_sdwa v51, v32, v52 dst_sel:DWORD dst_unused:UNUSED_PAD src0_sel:WORD_1 src1_sel:DWORD
	ds_read_b32 v75, v87 offset:3744
	v_fma_f16 v50, v32, v52, v50
	v_fma_f16 v32, v32, v77, -v51
	v_mul_f16_sdwa v51, v33, v78 dst_sel:DWORD dst_unused:UNUSED_PAD src0_sel:WORD_1 src1_sel:DWORD
	v_lshrrev_b32_e32 v79, 16, v54
	v_fma_f16 v51, v33, v12, v51
	v_mul_f16_sdwa v12, v33, v12 dst_sel:DWORD dst_unused:UNUSED_PAD src0_sel:WORD_1 src1_sel:DWORD
	v_fma_f16 v12, v33, v78, -v12
	v_mul_f16_sdwa v33, v34, v79 dst_sel:DWORD dst_unused:UNUSED_PAD src0_sel:WORD_1 src1_sel:DWORD
	v_fma_f16 v33, v34, v54, v33
	v_mul_f16_sdwa v52, v34, v54 dst_sel:DWORD dst_unused:UNUSED_PAD src0_sel:WORD_1 src1_sel:DWORD
	v_add_f16_e32 v54, v9, v20
	v_fma_f16 v54, v54, -0.5, v0
	v_sub_f16_e32 v55, v6, v14
	s_mov_b32 s3, 0xbb9c
	s_movk_i32 s5, 0x3b9c
	s_waitcnt lgkmcnt(0)
	v_lshrrev_b32_e32 v80, 16, v75
	v_fma_f16 v56, v55, s3, v54
	v_sub_f16_e32 v58, v10, v13
	s_mov_b32 s2, 0xb8b4
	v_sub_f16_e32 v59, v81, v9
	v_sub_f16_e32 v60, v21, v20
	v_fma_f16 v54, v55, s5, v54
	s_movk_i32 s12, 0x38b4
	v_fma_f16 v34, v34, v79, -v52
	v_mul_f16_sdwa v52, v35, v80 dst_sel:DWORD dst_unused:UNUSED_PAD src0_sel:WORD_1 src1_sel:DWORD
	v_mul_f16_sdwa v53, v35, v75 dst_sel:DWORD dst_unused:UNUSED_PAD src0_sel:WORD_1 src1_sel:DWORD
	v_fma_f16 v56, v58, s2, v56
	v_add_f16_e32 v59, v59, v60
	s_movk_i32 s4, 0x34f2
	v_fma_f16 v54, v58, s12, v54
	v_fma_f16 v52, v35, v75, v52
	v_fma_f16 v35, v35, v80, -v53
	v_add_f16_e32 v53, v0, v81
	v_fma_f16 v56, v59, s4, v56
	v_fma_f16 v54, v59, s4, v54
	v_add_f16_e32 v59, v81, v21
	v_lshrrev_b32_e32 v3, 16, v0
	v_add_f16_e32 v53, v53, v9
	v_fma_f16 v0, v59, -0.5, v0
	v_add_f16_e32 v53, v53, v20
	v_fma_f16 v59, v58, s5, v0
	v_sub_f16_e32 v60, v9, v81
	v_sub_f16_e32 v61, v20, v21
	v_fma_f16 v0, v58, s3, v0
	v_add_f16_e32 v58, v10, v13
	v_add_f16_e32 v53, v53, v21
	v_fma_f16 v59, v55, s2, v59
	v_add_f16_e32 v60, v60, v61
	v_fma_f16 v0, v55, s12, v0
	v_fma_f16 v58, v58, -0.5, v3
	v_sub_f16_e32 v21, v81, v21
	v_fma_f16 v59, v60, s4, v59
	v_fma_f16 v0, v60, s4, v0
	;; [unrolled: 1-line block ×3, first 2 shown]
	v_sub_f16_e32 v9, v9, v20
	v_fma_f16 v20, v9, s12, v60
	v_sub_f16_e32 v60, v6, v10
	v_sub_f16_e32 v61, v14, v13
	v_fma_f16 v58, v21, s3, v58
	v_add_f16_e32 v60, v60, v61
	v_fma_f16 v58, v9, s2, v58
	v_fma_f16 v20, v60, s4, v20
	;; [unrolled: 1-line block ×3, first 2 shown]
	v_add_f16_e32 v60, v6, v14
	v_add_f16_e32 v55, v3, v6
	v_fma_f16 v3, v60, -0.5, v3
	v_add_f16_e32 v55, v55, v10
	v_fma_f16 v60, v9, s3, v3
	v_sub_f16_e32 v6, v10, v6
	v_sub_f16_e32 v10, v13, v14
	v_fma_f16 v3, v9, s5, v3
	v_add_f16_e32 v9, v23, v24
	v_add_f16_e32 v55, v55, v13
	v_fma_f16 v60, v21, s12, v60
	v_add_f16_e32 v6, v6, v10
	v_fma_f16 v9, v9, -0.5, v1
	v_sub_f16_e32 v13, v16, v15
	v_add_f16_e32 v55, v55, v14
	v_fma_f16 v10, v6, s4, v60
	v_fma_f16 v3, v21, s2, v3
	;; [unrolled: 1-line block ×3, first 2 shown]
	v_sub_f16_e32 v21, v11, v18
	v_sub_f16_e32 v60, v22, v23
	;; [unrolled: 1-line block ×3, first 2 shown]
	v_fma_f16 v9, v13, s5, v9
	v_fma_f16 v14, v21, s2, v14
	v_add_f16_e32 v60, v60, v61
	v_fma_f16 v9, v21, s12, v9
	v_fma_f16 v14, v60, s4, v14
	v_fma_f16 v9, v60, s4, v9
	v_add_f16_e32 v60, v22, v25
	v_lshrrev_b32_e32 v57, 16, v1
	v_fma_f16 v3, v6, s4, v3
	v_add_f16_e32 v6, v1, v22
	v_fma_f16 v1, v60, -0.5, v1
	v_add_f16_e32 v6, v6, v23
	v_fma_f16 v60, v21, s5, v1
	v_fma_f16 v1, v21, s3, v1
	v_add_f16_e32 v21, v11, v18
	v_add_f16_e32 v6, v6, v24
	v_sub_f16_e32 v61, v23, v22
	v_sub_f16_e32 v63, v24, v25
	v_fma_f16 v21, v21, -0.5, v57
	v_sub_f16_e32 v22, v22, v25
	v_add_f16_e32 v6, v6, v25
	v_fma_f16 v60, v13, s2, v60
	v_add_f16_e32 v61, v61, v63
	v_fma_f16 v1, v13, s12, v1
	v_fma_f16 v25, v22, s5, v21
	v_sub_f16_e32 v23, v23, v24
	ds_read2_b32 v[45:46], v87 offset0:78 offset1:117
	v_fma_f16 v60, v61, s4, v60
	v_fma_f16 v1, v61, s4, v1
	;; [unrolled: 1-line block ×3, first 2 shown]
	v_sub_f16_e32 v25, v16, v11
	v_sub_f16_e32 v61, v15, v18
	v_fma_f16 v21, v22, s3, v21
	v_add_f16_e32 v13, v57, v16
	v_add_f16_e32 v25, v25, v61
	v_fma_f16 v21, v23, s2, v21
	v_add_f16_e32 v13, v13, v11
	v_fma_f16 v24, v25, s4, v24
	v_fma_f16 v21, v25, s4, v21
	v_add_f16_e32 v25, v16, v15
	v_add_f16_e32 v13, v13, v18
	v_fma_f16 v25, v25, -0.5, v57
	v_add_f16_e32 v13, v13, v15
	v_fma_f16 v57, v23, s3, v25
	v_sub_f16_e32 v11, v11, v16
	v_sub_f16_e32 v15, v18, v15
	v_fma_f16 v16, v23, s5, v25
	v_add_f16_e32 v18, v27, v29
	v_fma_f16 v57, v22, s12, v57
	v_add_f16_e32 v11, v11, v15
	v_fma_f16 v16, v22, s2, v16
	s_waitcnt lgkmcnt(0)
	v_fma_f16 v18, v18, -0.5, v45
	v_sub_f16_e32 v22, v17, v31
	v_fma_f16 v15, v11, s4, v57
	v_fma_f16 v23, v22, s3, v18
	v_sub_f16_e32 v25, v28, v19
	v_sub_f16_e32 v57, v26, v27
	;; [unrolled: 1-line block ×3, first 2 shown]
	v_fma_f16 v18, v22, s5, v18
	v_fma_f16 v23, v25, s2, v23
	v_add_f16_e32 v57, v57, v61
	v_fma_f16 v18, v25, s12, v18
	v_fma_f16 v23, v57, s4, v23
	;; [unrolled: 1-line block ×3, first 2 shown]
	v_add_f16_e32 v57, v26, v30
	v_lshrrev_b32_e32 v62, 16, v45
	v_fma_f16 v11, v11, s4, v16
	v_add_f16_e32 v16, v45, v26
	v_fma_f16 v45, v57, -0.5, v45
	v_add_f16_e32 v16, v16, v27
	v_fma_f16 v57, v25, s5, v45
	v_fma_f16 v25, v25, s3, v45
	v_add_f16_e32 v45, v28, v19
	v_add_f16_e32 v16, v16, v29
	v_sub_f16_e32 v61, v27, v26
	v_sub_f16_e32 v63, v29, v30
	v_fma_f16 v45, v45, -0.5, v62
	v_sub_f16_e32 v26, v26, v30
	v_add_f16_e32 v16, v16, v30
	v_fma_f16 v57, v22, s2, v57
	v_add_f16_e32 v61, v61, v63
	v_fma_f16 v22, v22, s12, v25
	v_fma_f16 v30, v26, s5, v45
	v_sub_f16_e32 v27, v27, v29
	v_fma_f16 v57, v61, s4, v57
	v_fma_f16 v22, v61, s4, v22
	;; [unrolled: 1-line block ×3, first 2 shown]
	v_sub_f16_e32 v30, v17, v28
	v_sub_f16_e32 v61, v31, v19
	v_fma_f16 v45, v26, s3, v45
	v_add_f16_e32 v30, v30, v61
	v_fma_f16 v45, v27, s2, v45
	v_fma_f16 v29, v30, s4, v29
	;; [unrolled: 1-line block ×3, first 2 shown]
	v_add_f16_e32 v45, v17, v31
	v_add_f16_e32 v25, v62, v17
	v_fma_f16 v45, v45, -0.5, v62
	v_add_f16_e32 v25, v25, v28
	v_fma_f16 v61, v27, s3, v45
	v_fma_f16 v27, v27, s5, v45
	v_add_f16_e32 v25, v25, v19
	v_fma_f16 v61, v26, s12, v61
	v_sub_f16_e32 v17, v28, v17
	v_sub_f16_e32 v19, v19, v31
	v_fma_f16 v26, v26, s2, v27
	v_add_f16_e32 v27, v47, v48
	v_add_f16_e32 v17, v17, v19
	v_fma_f16 v27, v27, -0.5, v46
	v_sub_f16_e32 v28, v36, v39
	v_add_f16_e32 v25, v25, v31
	v_fma_f16 v19, v17, s4, v61
	v_fma_f16 v31, v28, s3, v27
	v_sub_f16_e32 v45, v37, v38
	v_sub_f16_e32 v61, v43, v47
	;; [unrolled: 1-line block ×3, first 2 shown]
	v_fma_f16 v27, v28, s5, v27
	v_fma_f16 v31, v45, s2, v31
	v_add_f16_e32 v61, v61, v62
	v_fma_f16 v27, v45, s12, v27
	v_fma_f16 v31, v61, s4, v31
	v_fma_f16 v27, v61, s4, v27
	v_add_f16_e32 v61, v43, v49
	v_lshrrev_b32_e32 v70, 16, v46
	v_fma_f16 v17, v17, s4, v26
	v_add_f16_e32 v26, v46, v43
	v_fma_f16 v46, v61, -0.5, v46
	v_add_f16_e32 v26, v26, v47
	v_fma_f16 v61, v45, s5, v46
	v_fma_f16 v45, v45, s3, v46
	v_add_f16_e32 v46, v37, v38
	v_add_f16_e32 v26, v26, v48
	v_sub_f16_e32 v62, v47, v43
	v_sub_f16_e32 v63, v48, v49
	v_fma_f16 v46, v46, -0.5, v70
	v_sub_f16_e32 v43, v43, v49
	v_add_f16_e32 v26, v26, v49
	v_fma_f16 v61, v28, s2, v61
	v_add_f16_e32 v62, v62, v63
	v_fma_f16 v28, v28, s12, v45
	v_fma_f16 v49, v43, s5, v46
	v_sub_f16_e32 v47, v47, v48
	v_fma_f16 v61, v62, s4, v61
	v_fma_f16 v28, v62, s4, v28
	;; [unrolled: 1-line block ×3, first 2 shown]
	v_sub_f16_e32 v49, v36, v37
	v_sub_f16_e32 v62, v39, v38
	v_fma_f16 v46, v43, s3, v46
	v_add_f16_e32 v45, v70, v36
	v_add_f16_e32 v49, v49, v62
	v_fma_f16 v46, v47, s2, v46
	v_add_f16_e32 v45, v45, v37
	v_fma_f16 v48, v49, s4, v48
	v_fma_f16 v46, v49, s4, v46
	v_add_f16_e32 v49, v36, v39
	v_add_f16_e32 v45, v45, v38
	v_fma_f16 v49, v49, -0.5, v70
	v_add_f16_e32 v45, v45, v39
	v_fma_f16 v62, v47, s3, v49
	v_sub_f16_e32 v36, v37, v36
	v_sub_f16_e32 v37, v38, v39
	v_fma_f16 v38, v47, s5, v49
	v_add_f16_e32 v39, v51, v33
	v_fma_f16 v62, v43, s12, v62
	v_add_f16_e32 v36, v36, v37
	v_fma_f16 v38, v43, s2, v38
	v_fma_f16 v39, v39, -0.5, v8
	v_sub_f16_e32 v43, v32, v35
	v_fma_f16 v37, v36, s4, v62
	v_fma_f16 v47, v43, s3, v39
	v_sub_f16_e32 v49, v12, v34
	v_sub_f16_e32 v62, v50, v51
	;; [unrolled: 1-line block ×3, first 2 shown]
	v_fma_f16 v39, v43, s5, v39
	v_fma_f16 v47, v49, s2, v47
	v_add_f16_e32 v62, v62, v63
	v_fma_f16 v39, v49, s12, v39
	v_fma_f16 v47, v62, s4, v47
	;; [unrolled: 1-line block ×3, first 2 shown]
	v_add_f16_e32 v62, v50, v52
	v_lshrrev_b32_e32 v76, 16, v8
	v_fma_f16 v36, v36, s4, v38
	v_add_f16_e32 v38, v8, v50
	v_fma_f16 v8, v62, -0.5, v8
	v_add_f16_e32 v38, v38, v51
	v_fma_f16 v62, v49, s5, v8
	v_fma_f16 v8, v49, s3, v8
	v_add_f16_e32 v49, v12, v34
	v_add_f16_e32 v38, v38, v33
	v_sub_f16_e32 v63, v51, v50
	v_sub_f16_e32 v64, v33, v52
	v_fma_f16 v49, v49, -0.5, v76
	v_sub_f16_e32 v50, v50, v52
	v_add_f16_e32 v38, v38, v52
	v_fma_f16 v62, v43, s2, v62
	v_add_f16_e32 v63, v63, v64
	v_fma_f16 v8, v43, s12, v8
	v_fma_f16 v52, v50, s5, v49
	v_sub_f16_e32 v33, v51, v33
	v_fma_f16 v62, v63, s4, v62
	v_fma_f16 v8, v63, s4, v8
	;; [unrolled: 1-line block ×3, first 2 shown]
	v_sub_f16_e32 v52, v32, v12
	v_sub_f16_e32 v63, v35, v34
	v_fma_f16 v49, v50, s3, v49
	v_add_f16_e32 v52, v52, v63
	v_fma_f16 v49, v33, s2, v49
	v_fma_f16 v51, v52, s4, v51
	;; [unrolled: 1-line block ×3, first 2 shown]
	v_add_f16_e32 v52, v32, v35
	v_add_f16_e32 v43, v76, v32
	v_fma_f16 v52, v52, -0.5, v76
	v_add_f16_e32 v43, v43, v12
	v_fma_f16 v63, v33, s3, v52
	v_sub_f16_e32 v12, v12, v32
	v_sub_f16_e32 v32, v34, v35
	v_fma_f16 v33, v33, s5, v52
	v_fma_f16 v63, v50, s12, v63
	v_add_f16_e32 v12, v12, v32
	v_fma_f16 v33, v50, s2, v33
	v_fma_f16 v32, v12, s4, v63
	;; [unrolled: 1-line block ×3, first 2 shown]
	v_pack_b32_f16 v33, v53, v55
	v_pack_b32_f16 v6, v6, v13
	;; [unrolled: 1-line block ×3, first 2 shown]
	ds_write2_b32 v87, v33, v6 offset1:39
	v_pack_b32_f16 v6, v14, v24
	v_add_u32_e32 v13, 0x300, v87
	v_pack_b32_f16 v0, v0, v3
	ds_write2_b32 v13, v6, v10 offset0:42 offset1:198
	v_pack_b32_f16 v10, v60, v15
	v_add_u32_e32 v6, 0x600, v87
	v_pack_b32_f16 v3, v54, v58
	ds_write2_b32 v6, v10, v0 offset0:45 offset1:201
	v_pack_b32_f16 v0, v1, v11
	v_add_u32_e32 v1, 0x900, v87
	ds_write2_b32 v1, v0, v3 offset0:48 offset1:204
	v_pack_b32_f16 v0, v9, v21
	v_pack_b32_f16 v1, v23, v29
	;; [unrolled: 1-line block ×3, first 2 shown]
	v_add_u32_e32 v9, 0x300, v69
	ds_write2_b32 v9, v1, v3 offset0:3 offset1:198
	v_pack_b32_f16 v1, v22, v17
	v_pack_b32_f16 v3, v18, v30
	v_add_u32_e32 v9, 0x900, v69
	ds_write_b32 v87, v0 offset:3276
	v_pack_b32_f16 v0, v16, v25
	ds_write2_b32 v9, v1, v3 offset0:9 offset1:204
	v_pack_b32_f16 v1, v26, v45
	v_add_f16_e32 v43, v43, v34
	ds_write2_b32 v87, v0, v1 offset0:78 offset1:117
	v_pack_b32_f16 v0, v31, v48
	v_pack_b32_f16 v1, v61, v37
	v_add_u32_e32 v3, 0x300, v68
	v_add_f16_e32 v43, v43, v35
	ds_write2_b32 v3, v0, v1 offset0:3 offset1:198
	v_pack_b32_f16 v0, v28, v36
	v_pack_b32_f16 v1, v27, v46
	v_add_u32_e32 v3, 0x900, v68
	v_pack_b32_f16 v20, v56, v20
	ds_write2_b32 v3, v0, v1 offset0:9 offset1:204
	v_pack_b32_f16 v0, v38, v43
	ds_write2_b32 v87, v0, v20 offset0:156 offset1:195
	v_pack_b32_f16 v0, v47, v51
	v_pack_b32_f16 v1, v62, v32
	v_add_u32_e32 v3, 0x300, v67
	ds_write2_b32 v3, v0, v1 offset0:3 offset1:198
	v_pack_b32_f16 v0, v8, v12
	v_pack_b32_f16 v1, v39, v49
	v_add_u32_e32 v3, 0x900, v67
	ds_write2_b32 v3, v0, v1 offset0:9 offset1:204
	s_waitcnt lgkmcnt(0)
	s_barrier
	ds_read2_b32 v[0:1], v87 offset1:75
	s_mov_b32 s12, 0xaa677344
	s_mov_b32 s13, 0x3f50cdd9
	v_mad_u64_u32 v[8:9], s[2:3], s10, v44, 0
	s_waitcnt lgkmcnt(0)
	v_lshrrev_b32_e32 v14, 16, v0
	v_mul_f16_sdwa v3, v100, v14 dst_sel:DWORD dst_unused:UNUSED_PAD src0_sel:WORD_1 src1_sel:DWORD
	v_fma_f16 v3, v100, v0, v3
	v_cvt_f32_f16_e32 v3, v3
	s_movk_i32 s15, 0x1ff
	s_movk_i32 s10, 0xffe
	v_mul_f16_sdwa v0, v100, v0 dst_sel:DWORD dst_unused:UNUSED_PAD src0_sel:WORD_1 src1_sel:DWORD
	v_cvt_f64_f32_e32 v[10:11], v3
	v_mov_b32_e32 v3, v9
	v_mad_u64_u32 v[12:13], s[2:3], s11, v44, v[3:4]
	v_mul_f64 v[10:11], v[10:11], s[12:13]
	v_fma_f16 v0, v100, v14, -v0
	v_mov_b32_e32 v9, v12
	v_cvt_f32_f16_e32 v0, v0
	s_movk_i32 s11, 0x40f
	s_mov_b32 s14, 0x8000
	v_lshlrev_b64 v[8:9], 2, v[8:9]
	v_and_or_b32 v3, v11, s15, v10
	v_cmp_ne_u32_e32 vcc, 0, v3
	v_cndmask_b32_e64 v3, 0, 1, vcc
	v_lshrrev_b32_e32 v10, 8, v11
	v_bfe_u32 v12, v11, 20, 11
	v_and_or_b32 v10, v10, s10, v3
	v_sub_u32_e32 v13, 0x3f1, v12
	v_or_b32_e32 v3, 0x1000, v10
	v_med3_i32 v13, v13, 0, 13
	v_lshrrev_b32_e32 v15, v13, v3
	v_lshlrev_b32_e32 v13, v13, v15
	v_cmp_ne_u32_e32 vcc, v13, v3
	v_cndmask_b32_e64 v3, 0, 1, vcc
	v_or_b32_e32 v3, v15, v3
	v_add_u32_e32 v15, 0xfffffc10, v12
	v_lshl_or_b32 v12, v15, 12, v10
	v_cmp_gt_i32_e32 vcc, 1, v15
	v_cndmask_b32_e32 v3, v12, v3, vcc
	v_and_b32_e32 v12, 7, v3
	v_cmp_lt_i32_e32 vcc, 5, v12
	v_cmp_eq_u32_e64 s[2:3], 3, v12
	v_cvt_f64_f32_e32 v[12:13], v0
	v_lshrrev_b32_e32 v3, 2, v3
	s_or_b64 vcc, s[2:3], vcc
	v_addc_co_u32_e32 v14, vcc, 0, v3, vcc
	v_mul_f64 v[12:13], v[12:13], s[12:13]
	v_mov_b32_e32 v3, 0x7c00
	v_cmp_gt_i32_e32 vcc, 31, v15
	v_cndmask_b32_e32 v0, v3, v14, vcc
	v_cmp_ne_u32_e32 vcc, 0, v10
	v_cndmask_b32_e64 v10, 0, 1, vcc
	v_lshl_or_b32 v10, v10, 9, v3
	v_cmp_eq_u32_e32 vcc, s11, v15
	v_cndmask_b32_e32 v0, v0, v10, vcc
	v_lshrrev_b32_e32 v10, 16, v11
	v_and_or_b32 v14, v10, s14, v0
	v_and_or_b32 v0, v13, s15, v12
	v_cmp_ne_u32_e32 vcc, 0, v0
	v_cndmask_b32_e64 v0, 0, 1, vcc
	v_lshrrev_b32_e32 v10, 8, v13
	v_bfe_u32 v11, v13, 20, 11
	v_and_or_b32 v0, v10, s10, v0
	v_sub_u32_e32 v12, 0x3f1, v11
	v_or_b32_e32 v10, 0x1000, v0
	v_med3_i32 v12, v12, 0, 13
	v_lshrrev_b32_e32 v15, v12, v10
	v_lshlrev_b32_e32 v12, v12, v15
	v_cmp_ne_u32_e32 vcc, v12, v10
	v_cndmask_b32_e64 v10, 0, 1, vcc
	v_add_u32_e32 v12, 0xfffffc10, v11
	v_or_b32_e32 v10, v15, v10
	v_lshl_or_b32 v11, v12, 12, v0
	v_cmp_gt_i32_e32 vcc, 1, v12
	v_cndmask_b32_e32 v10, v11, v10, vcc
	v_and_b32_e32 v11, 7, v10
	v_cmp_lt_i32_e32 vcc, 5, v11
	v_cmp_eq_u32_e64 s[2:3], 3, v11
	v_lshrrev_b32_e32 v10, 2, v10
	s_or_b64 vcc, s[2:3], vcc
	v_addc_co_u32_e32 v10, vcc, 0, v10, vcc
	v_cmp_gt_i32_e32 vcc, 31, v12
	v_cndmask_b32_e32 v15, v3, v10, vcc
	v_mad_u64_u32 v[10:11], s[2:3], s8, v42, 0
	v_cmp_ne_u32_e32 vcc, 0, v0
	v_cndmask_b32_e64 v0, 0, 1, vcc
	v_lshl_or_b32 v0, v0, 9, v3
	v_cmp_eq_u32_e32 vcc, s11, v12
	v_cndmask_b32_e32 v15, v15, v0, vcc
	v_mov_b32_e32 v0, v11
	v_mad_u64_u32 v[11:12], s[2:3], s9, v42, v[0:1]
	v_lshrrev_b32_e32 v0, 16, v1
	v_mul_f16_sdwa v12, v99, v0 dst_sel:DWORD dst_unused:UNUSED_PAD src0_sel:WORD_1 src1_sel:DWORD
	v_fma_f16 v12, v99, v1, v12
	v_cvt_f32_f16_e32 v12, v12
	v_lshrrev_b32_e32 v13, 16, v13
	v_and_or_b32 v15, v13, s14, v15
	v_and_b32_e32 v14, 0xffff, v14
	v_cvt_f64_f32_e32 v[12:13], v12
	v_lshl_or_b32 v14, v15, 16, v14
	v_mov_b32_e32 v15, s7
	v_add_co_u32_e32 v16, vcc, s6, v8
	v_mul_f64 v[12:13], v[12:13], s[12:13]
	v_addc_co_u32_e32 v15, vcc, v15, v9, vcc
	v_lshlrev_b64 v[8:9], 2, v[10:11]
	v_mul_f16_sdwa v1, v99, v1 dst_sel:DWORD dst_unused:UNUSED_PAD src0_sel:WORD_1 src1_sel:DWORD
	v_add_co_u32_e32 v8, vcc, v16, v8
	v_addc_co_u32_e32 v9, vcc, v15, v9, vcc
	v_and_or_b32 v10, v13, s15, v12
	v_cmp_ne_u32_e32 vcc, 0, v10
	v_fma_f16 v0, v99, v0, -v1
	v_cndmask_b32_e64 v10, 0, 1, vcc
	v_lshrrev_b32_e32 v11, 8, v13
	v_bfe_u32 v12, v13, 20, 11
	v_cvt_f32_f16_e32 v0, v0
	global_store_dword v[8:9], v14, off
	v_and_or_b32 v10, v11, s10, v10
	v_sub_u32_e32 v14, 0x3f1, v12
	v_or_b32_e32 v11, 0x1000, v10
	v_med3_i32 v14, v14, 0, 13
	v_lshrrev_b32_e32 v15, v14, v11
	v_lshlrev_b32_e32 v14, v14, v15
	v_cvt_f64_f32_e32 v[0:1], v0
	v_cmp_ne_u32_e32 vcc, v14, v11
	v_cndmask_b32_e64 v11, 0, 1, vcc
	v_add_u32_e32 v12, 0xfffffc10, v12
	v_or_b32_e32 v11, v15, v11
	v_lshl_or_b32 v14, v12, 12, v10
	v_cmp_gt_i32_e32 vcc, 1, v12
	v_cndmask_b32_e32 v11, v14, v11, vcc
	v_mul_f64 v[0:1], v[0:1], s[12:13]
	v_and_b32_e32 v14, 7, v11
	v_cmp_lt_i32_e32 vcc, 5, v14
	v_cmp_eq_u32_e64 s[2:3], 3, v14
	v_lshrrev_b32_e32 v11, 2, v11
	s_or_b64 vcc, s[2:3], vcc
	v_addc_co_u32_e32 v11, vcc, 0, v11, vcc
	v_cmp_gt_i32_e32 vcc, 31, v12
	v_cndmask_b32_e32 v11, v3, v11, vcc
	v_cmp_ne_u32_e32 vcc, 0, v10
	v_cndmask_b32_e64 v10, 0, 1, vcc
	v_lshl_or_b32 v10, v10, 9, v3
	v_cmp_eq_u32_e32 vcc, s11, v12
	v_and_or_b32 v0, v1, s15, v0
	v_cndmask_b32_e32 v10, v11, v10, vcc
	v_lshrrev_b32_e32 v11, 16, v13
	v_cmp_ne_u32_e32 vcc, 0, v0
	v_and_or_b32 v12, v11, s14, v10
	v_cndmask_b32_e64 v0, 0, 1, vcc
	v_lshrrev_b32_e32 v10, 8, v1
	v_bfe_u32 v11, v1, 20, 11
	v_and_or_b32 v0, v10, s10, v0
	v_sub_u32_e32 v13, 0x3f1, v11
	v_or_b32_e32 v10, 0x1000, v0
	v_med3_i32 v13, v13, 0, 13
	v_lshrrev_b32_e32 v14, v13, v10
	v_lshlrev_b32_e32 v13, v13, v14
	v_cmp_ne_u32_e32 vcc, v13, v10
	v_cndmask_b32_e64 v10, 0, 1, vcc
	v_add_u32_e32 v13, 0xfffffc10, v11
	v_or_b32_e32 v10, v14, v10
	v_lshl_or_b32 v11, v13, 12, v0
	v_cmp_gt_i32_e32 vcc, 1, v13
	v_cndmask_b32_e32 v10, v11, v10, vcc
	v_and_b32_e32 v11, 7, v10
	v_cmp_lt_i32_e32 vcc, 5, v11
	v_cmp_eq_u32_e64 s[2:3], 3, v11
	v_lshrrev_b32_e32 v10, 2, v10
	s_or_b64 vcc, s[2:3], vcc
	v_addc_co_u32_e32 v10, vcc, 0, v10, vcc
	v_cmp_gt_i32_e32 vcc, 31, v13
	v_cndmask_b32_e32 v14, v3, v10, vcc
	ds_read2_b32 v[10:11], v87 offset0:150 offset1:225
	v_cmp_ne_u32_e32 vcc, 0, v0
	v_cndmask_b32_e64 v0, 0, 1, vcc
	v_lshl_or_b32 v0, v0, 9, v3
	v_cmp_eq_u32_e32 vcc, s11, v13
	v_cndmask_b32_e32 v0, v14, v0, vcc
	v_lshrrev_b32_e32 v1, 16, v1
	s_waitcnt lgkmcnt(0)
	v_lshrrev_b32_e32 v14, 16, v10
	v_and_or_b32 v13, v1, s14, v0
	v_mul_f16_sdwa v0, v98, v14 dst_sel:DWORD dst_unused:UNUSED_PAD src0_sel:WORD_1 src1_sel:DWORD
	v_fma_f16 v0, v98, v10, v0
	v_cvt_f32_f16_e32 v0, v0
	v_and_b32_e32 v12, 0xffff, v12
	v_lshl_or_b32 v15, v13, 16, v12
	s_mul_i32 s2, s9, 0x4b
	v_cvt_f64_f32_e32 v[0:1], v0
	s_mul_hi_u32 s3, s8, 0x4b
	s_add_i32 s3, s3, s2
	s_mul_i32 s2, s8, 0x4b
	v_mul_f64 v[12:13], v[0:1], s[12:13]
	s_lshl_b64 s[6:7], s[2:3], 2
	v_mov_b32_e32 v1, s7
	v_add_co_u32_e32 v8, vcc, s6, v8
	v_addc_co_u32_e32 v9, vcc, v9, v1, vcc
	global_store_dword v[8:9], v15, off
	v_and_or_b32 v0, v13, s15, v12
	v_cmp_ne_u32_e32 vcc, 0, v0
	v_cndmask_b32_e64 v0, 0, 1, vcc
	v_lshrrev_b32_e32 v12, 8, v13
	v_bfe_u32 v15, v13, 20, 11
	v_and_or_b32 v0, v12, s10, v0
	v_sub_u32_e32 v16, 0x3f1, v15
	v_or_b32_e32 v12, 0x1000, v0
	v_med3_i32 v16, v16, 0, 13
	v_lshrrev_b32_e32 v17, v16, v12
	v_lshlrev_b32_e32 v16, v16, v17
	v_mul_f16_sdwa v10, v98, v10 dst_sel:DWORD dst_unused:UNUSED_PAD src0_sel:WORD_1 src1_sel:DWORD
	v_cmp_ne_u32_e32 vcc, v16, v12
	v_fma_f16 v10, v98, v14, -v10
	v_cndmask_b32_e64 v12, 0, 1, vcc
	v_add_u32_e32 v16, 0xfffffc10, v15
	v_cvt_f32_f16_e32 v10, v10
	v_or_b32_e32 v12, v17, v12
	v_lshl_or_b32 v15, v16, 12, v0
	v_cmp_gt_i32_e32 vcc, 1, v16
	v_cndmask_b32_e32 v12, v15, v12, vcc
	v_and_b32_e32 v15, 7, v12
	v_cmp_lt_i32_e32 vcc, 5, v15
	v_cmp_eq_u32_e64 s[2:3], 3, v15
	v_cvt_f64_f32_e32 v[14:15], v10
	v_lshrrev_b32_e32 v12, 2, v12
	s_or_b64 vcc, s[2:3], vcc
	v_addc_co_u32_e32 v10, vcc, 0, v12, vcc
	v_mul_f64 v[14:15], v[14:15], s[12:13]
	v_cmp_gt_i32_e32 vcc, 31, v16
	v_cndmask_b32_e32 v10, v3, v10, vcc
	v_cmp_ne_u32_e32 vcc, 0, v0
	v_cndmask_b32_e64 v0, 0, 1, vcc
	v_lshl_or_b32 v0, v0, 9, v3
	v_cmp_eq_u32_e32 vcc, s11, v16
	v_cndmask_b32_e32 v0, v10, v0, vcc
	v_lshrrev_b32_e32 v10, 16, v13
	v_and_or_b32 v0, v10, s14, v0
	v_and_or_b32 v10, v15, s15, v14
	v_cmp_ne_u32_e32 vcc, 0, v10
	v_cndmask_b32_e64 v10, 0, 1, vcc
	v_lshrrev_b32_e32 v12, 8, v15
	v_bfe_u32 v13, v15, 20, 11
	v_and_or_b32 v10, v12, s10, v10
	v_sub_u32_e32 v14, 0x3f1, v13
	v_or_b32_e32 v12, 0x1000, v10
	v_med3_i32 v14, v14, 0, 13
	v_lshrrev_b32_e32 v16, v14, v12
	v_lshlrev_b32_e32 v14, v14, v16
	v_cmp_ne_u32_e32 vcc, v14, v12
	v_cndmask_b32_e64 v12, 0, 1, vcc
	v_add_u32_e32 v14, 0xfffffc10, v13
	v_or_b32_e32 v12, v16, v12
	v_lshl_or_b32 v13, v14, 12, v10
	v_cmp_gt_i32_e32 vcc, 1, v14
	v_cndmask_b32_e32 v12, v13, v12, vcc
	v_and_b32_e32 v13, 7, v12
	v_cmp_lt_i32_e32 vcc, 5, v13
	v_cmp_eq_u32_e64 s[2:3], 3, v13
	v_lshrrev_b32_e32 v12, 2, v12
	s_or_b64 vcc, s[2:3], vcc
	v_addc_co_u32_e32 v12, vcc, 0, v12, vcc
	v_cmp_gt_i32_e32 vcc, 31, v14
	v_lshrrev_b32_e32 v17, 16, v11
	v_cndmask_b32_e32 v16, v3, v12, vcc
	v_mul_f16_sdwa v12, v97, v17 dst_sel:DWORD dst_unused:UNUSED_PAD src0_sel:WORD_1 src1_sel:DWORD
	v_fma_f16 v12, v97, v11, v12
	v_cvt_f32_f16_e32 v12, v12
	v_cmp_ne_u32_e32 vcc, 0, v10
	v_cndmask_b32_e64 v10, 0, 1, vcc
	v_lshl_or_b32 v10, v10, 9, v3
	v_cvt_f64_f32_e32 v[12:13], v12
	v_cmp_eq_u32_e32 vcc, s11, v14
	v_cndmask_b32_e32 v10, v16, v10, vcc
	v_lshrrev_b32_e32 v14, 16, v15
	v_mul_f64 v[12:13], v[12:13], s[12:13]
	v_and_or_b32 v10, v14, s14, v10
	v_and_b32_e32 v0, 0xffff, v0
	v_add_co_u32_e32 v8, vcc, s6, v8
	v_lshl_or_b32 v0, v10, 16, v0
	v_addc_co_u32_e32 v9, vcc, v9, v1, vcc
	global_store_dword v[8:9], v0, off
	v_and_or_b32 v0, v13, s15, v12
	v_cmp_ne_u32_e32 vcc, 0, v0
	v_cndmask_b32_e64 v0, 0, 1, vcc
	v_lshrrev_b32_e32 v10, 8, v13
	v_bfe_u32 v12, v13, 20, 11
	v_and_or_b32 v0, v10, s10, v0
	v_sub_u32_e32 v14, 0x3f1, v12
	v_or_b32_e32 v10, 0x1000, v0
	v_med3_i32 v14, v14, 0, 13
	v_lshrrev_b32_e32 v15, v14, v10
	v_lshlrev_b32_e32 v14, v14, v15
	v_mul_f16_sdwa v11, v97, v11 dst_sel:DWORD dst_unused:UNUSED_PAD src0_sel:WORD_1 src1_sel:DWORD
	v_cmp_ne_u32_e32 vcc, v14, v10
	v_fma_f16 v11, v97, v17, -v11
	v_cndmask_b32_e64 v10, 0, 1, vcc
	v_add_u32_e32 v12, 0xfffffc10, v12
	v_cvt_f32_f16_e32 v11, v11
	v_or_b32_e32 v10, v15, v10
	v_lshl_or_b32 v14, v12, 12, v0
	v_cmp_gt_i32_e32 vcc, 1, v12
	v_cndmask_b32_e32 v10, v14, v10, vcc
	v_and_b32_e32 v14, 7, v10
	v_cmp_lt_i32_e32 vcc, 5, v14
	v_cmp_eq_u32_e64 s[2:3], 3, v14
	v_lshrrev_b32_e32 v14, 2, v10
	v_cvt_f64_f32_e32 v[10:11], v11
	s_or_b64 vcc, s[2:3], vcc
	v_addc_co_u32_e32 v14, vcc, 0, v14, vcc
	v_mul_f64 v[10:11], v[10:11], s[12:13]
	v_cmp_gt_i32_e32 vcc, 31, v12
	v_cndmask_b32_e32 v14, v3, v14, vcc
	v_cmp_ne_u32_e32 vcc, 0, v0
	v_cndmask_b32_e64 v0, 0, 1, vcc
	v_lshl_or_b32 v0, v0, 9, v3
	v_cmp_eq_u32_e32 vcc, s11, v12
	v_cndmask_b32_e32 v0, v14, v0, vcc
	v_and_or_b32 v10, v11, s15, v10
	v_lshrrev_b32_e32 v12, 16, v13
	v_cmp_ne_u32_e32 vcc, 0, v10
	v_and_or_b32 v0, v12, s14, v0
	v_cndmask_b32_e64 v10, 0, 1, vcc
	v_lshrrev_b32_e32 v12, 8, v11
	v_bfe_u32 v13, v11, 20, 11
	v_and_or_b32 v10, v12, s10, v10
	v_sub_u32_e32 v14, 0x3f1, v13
	v_or_b32_e32 v12, 0x1000, v10
	v_med3_i32 v14, v14, 0, 13
	v_lshrrev_b32_e32 v15, v14, v12
	v_lshlrev_b32_e32 v14, v14, v15
	v_cmp_ne_u32_e32 vcc, v14, v12
	v_cndmask_b32_e64 v12, 0, 1, vcc
	v_add_u32_e32 v16, 0xfffffc10, v13
	v_or_b32_e32 v12, v15, v12
	v_lshl_or_b32 v13, v16, 12, v10
	v_cmp_gt_i32_e32 vcc, 1, v16
	v_cndmask_b32_e32 v12, v13, v12, vcc
	v_and_b32_e32 v13, 7, v12
	v_cmp_lt_i32_e32 vcc, 5, v13
	v_cmp_eq_u32_e64 s[2:3], 3, v13
	v_lshrrev_b32_e32 v14, 2, v12
	ds_read2_b32 v[12:13], v5 offset0:44 offset1:119
	s_or_b64 vcc, s[2:3], vcc
	v_addc_co_u32_e32 v14, vcc, 0, v14, vcc
	v_cmp_gt_i32_e32 vcc, 31, v16
	s_waitcnt lgkmcnt(0)
	v_lshrrev_b32_e32 v18, 16, v12
	v_cndmask_b32_e32 v17, v3, v14, vcc
	v_mul_f16_sdwa v14, v96, v18 dst_sel:DWORD dst_unused:UNUSED_PAD src0_sel:WORD_1 src1_sel:DWORD
	v_fma_f16 v14, v96, v12, v14
	v_cvt_f32_f16_e32 v14, v14
	v_cmp_ne_u32_e32 vcc, 0, v10
	v_cndmask_b32_e64 v10, 0, 1, vcc
	v_lshl_or_b32 v10, v10, 9, v3
	v_cvt_f64_f32_e32 v[14:15], v14
	v_cmp_eq_u32_e32 vcc, s11, v16
	v_cndmask_b32_e32 v10, v17, v10, vcc
	v_lshrrev_b32_e32 v11, 16, v11
	v_and_or_b32 v16, v11, s14, v10
	v_mul_f64 v[10:11], v[14:15], s[12:13]
	v_and_b32_e32 v0, 0xffff, v0
	v_add_co_u32_e32 v8, vcc, s6, v8
	v_lshl_or_b32 v0, v16, 16, v0
	v_addc_co_u32_e32 v9, vcc, v9, v1, vcc
	global_store_dword v[8:9], v0, off
	v_and_or_b32 v0, v11, s15, v10
	v_cmp_ne_u32_e32 vcc, 0, v0
	v_cndmask_b32_e64 v0, 0, 1, vcc
	v_lshrrev_b32_e32 v10, 8, v11
	v_bfe_u32 v14, v11, 20, 11
	v_and_or_b32 v0, v10, s10, v0
	v_sub_u32_e32 v15, 0x3f1, v14
	v_or_b32_e32 v10, 0x1000, v0
	v_med3_i32 v15, v15, 0, 13
	v_lshrrev_b32_e32 v16, v15, v10
	v_lshlrev_b32_e32 v15, v15, v16
	v_cmp_ne_u32_e32 vcc, v15, v10
	v_mul_f16_sdwa v12, v96, v12 dst_sel:DWORD dst_unused:UNUSED_PAD src0_sel:WORD_1 src1_sel:DWORD
	v_cndmask_b32_e64 v10, 0, 1, vcc
	v_fma_f16 v12, v96, v18, -v12
	v_or_b32_e32 v10, v16, v10
	v_add_u32_e32 v16, 0xfffffc10, v14
	v_cvt_f32_f16_e32 v12, v12
	v_lshl_or_b32 v14, v16, 12, v0
	v_cmp_gt_i32_e32 vcc, 1, v16
	v_cndmask_b32_e32 v10, v14, v10, vcc
	v_and_b32_e32 v14, 7, v10
	v_cmp_lt_i32_e32 vcc, 5, v14
	v_cmp_eq_u32_e64 s[2:3], 3, v14
	v_cvt_f64_f32_e32 v[14:15], v12
	v_lshrrev_b32_e32 v10, 2, v10
	s_or_b64 vcc, s[2:3], vcc
	v_addc_co_u32_e32 v10, vcc, 0, v10, vcc
	v_mul_f64 v[14:15], v[14:15], s[12:13]
	v_cmp_gt_i32_e32 vcc, 31, v16
	v_cndmask_b32_e32 v10, v3, v10, vcc
	v_cmp_ne_u32_e32 vcc, 0, v0
	v_cndmask_b32_e64 v0, 0, 1, vcc
	v_lshl_or_b32 v0, v0, 9, v3
	v_cmp_eq_u32_e32 vcc, s11, v16
	v_cndmask_b32_e32 v0, v10, v0, vcc
	v_lshrrev_b32_e32 v10, 16, v11
	v_and_or_b32 v0, v10, s14, v0
	v_and_or_b32 v10, v15, s15, v14
	v_cmp_ne_u32_e32 vcc, 0, v10
	v_cndmask_b32_e64 v10, 0, 1, vcc
	v_lshrrev_b32_e32 v11, 8, v15
	v_bfe_u32 v12, v15, 20, 11
	v_and_or_b32 v10, v11, s10, v10
	v_sub_u32_e32 v14, 0x3f1, v12
	v_or_b32_e32 v11, 0x1000, v10
	v_med3_i32 v14, v14, 0, 13
	v_lshrrev_b32_e32 v16, v14, v11
	v_lshlrev_b32_e32 v14, v14, v16
	v_cmp_ne_u32_e32 vcc, v14, v11
	v_cndmask_b32_e64 v11, 0, 1, vcc
	v_add_u32_e32 v12, 0xfffffc10, v12
	v_or_b32_e32 v11, v16, v11
	v_lshl_or_b32 v14, v12, 12, v10
	v_cmp_gt_i32_e32 vcc, 1, v12
	v_cndmask_b32_e32 v11, v14, v11, vcc
	v_and_b32_e32 v14, 7, v11
	v_cmp_lt_i32_e32 vcc, 5, v14
	v_cmp_eq_u32_e64 s[2:3], 3, v14
	v_lshrrev_b32_e32 v11, 2, v11
	s_or_b64 vcc, s[2:3], vcc
	v_addc_co_u32_e32 v11, vcc, 0, v11, vcc
	v_cmp_gt_i32_e32 vcc, 31, v12
	v_lshrrev_b32_e32 v16, 16, v13
	v_cndmask_b32_e32 v14, v3, v11, vcc
	v_mul_f16_sdwa v11, v95, v16 dst_sel:DWORD dst_unused:UNUSED_PAD src0_sel:WORD_1 src1_sel:DWORD
	v_fma_f16 v11, v95, v13, v11
	v_cvt_f32_f16_e32 v11, v11
	v_cmp_ne_u32_e32 vcc, 0, v10
	v_cndmask_b32_e64 v10, 0, 1, vcc
	v_lshl_or_b32 v17, v10, 9, v3
	v_cvt_f64_f32_e32 v[10:11], v11
	v_cmp_eq_u32_e32 vcc, s11, v12
	v_cndmask_b32_e32 v12, v14, v17, vcc
	v_lshrrev_b32_e32 v14, 16, v15
	v_mul_f64 v[10:11], v[10:11], s[12:13]
	v_and_or_b32 v12, v14, s14, v12
	v_and_b32_e32 v0, 0xffff, v0
	v_add_co_u32_e32 v8, vcc, s6, v8
	v_lshl_or_b32 v0, v12, 16, v0
	v_addc_co_u32_e32 v9, vcc, v9, v1, vcc
	global_store_dword v[8:9], v0, off
	v_and_or_b32 v0, v11, s15, v10
	v_cmp_ne_u32_e32 vcc, 0, v0
	v_cndmask_b32_e64 v0, 0, 1, vcc
	v_lshrrev_b32_e32 v10, 8, v11
	v_bfe_u32 v12, v11, 20, 11
	v_and_or_b32 v0, v10, s10, v0
	v_sub_u32_e32 v14, 0x3f1, v12
	v_or_b32_e32 v10, 0x1000, v0
	v_med3_i32 v14, v14, 0, 13
	v_lshrrev_b32_e32 v15, v14, v10
	v_lshlrev_b32_e32 v14, v14, v15
	v_mul_f16_sdwa v13, v95, v13 dst_sel:DWORD dst_unused:UNUSED_PAD src0_sel:WORD_1 src1_sel:DWORD
	v_cmp_ne_u32_e32 vcc, v14, v10
	v_fma_f16 v13, v95, v16, -v13
	v_cndmask_b32_e64 v10, 0, 1, vcc
	v_add_u32_e32 v14, 0xfffffc10, v12
	v_cvt_f32_f16_e32 v13, v13
	v_or_b32_e32 v10, v15, v10
	v_lshl_or_b32 v12, v14, 12, v0
	v_cmp_gt_i32_e32 vcc, 1, v14
	v_cndmask_b32_e32 v10, v12, v10, vcc
	v_and_b32_e32 v12, 7, v10
	v_cmp_lt_i32_e32 vcc, 5, v12
	v_cmp_eq_u32_e64 s[2:3], 3, v12
	v_cvt_f64_f32_e32 v[12:13], v13
	v_lshrrev_b32_e32 v10, 2, v10
	s_or_b64 vcc, s[2:3], vcc
	v_addc_co_u32_e32 v10, vcc, 0, v10, vcc
	v_mul_f64 v[12:13], v[12:13], s[12:13]
	v_cmp_gt_i32_e32 vcc, 31, v14
	v_cndmask_b32_e32 v10, v3, v10, vcc
	v_cmp_ne_u32_e32 vcc, 0, v0
	v_cndmask_b32_e64 v0, 0, 1, vcc
	v_lshl_or_b32 v0, v0, 9, v3
	v_cmp_eq_u32_e32 vcc, s11, v14
	v_cndmask_b32_e32 v0, v10, v0, vcc
	v_lshrrev_b32_e32 v10, 16, v11
	v_and_or_b32 v0, v10, s14, v0
	v_and_or_b32 v10, v13, s15, v12
	v_cmp_ne_u32_e32 vcc, 0, v10
	v_cndmask_b32_e64 v10, 0, 1, vcc
	v_lshrrev_b32_e32 v11, 8, v13
	v_and_or_b32 v12, v11, s10, v10
	v_bfe_u32 v11, v13, 20, 11
	v_sub_u32_e32 v14, 0x3f1, v11
	v_or_b32_e32 v10, 0x1000, v12
	v_med3_i32 v14, v14, 0, 13
	v_lshrrev_b32_e32 v15, v14, v10
	v_lshlrev_b32_e32 v14, v14, v15
	v_cmp_ne_u32_e32 vcc, v14, v10
	v_cndmask_b32_e64 v10, 0, 1, vcc
	v_add_u32_e32 v16, 0xfffffc10, v11
	v_or_b32_e32 v10, v15, v10
	v_lshl_or_b32 v11, v16, 12, v12
	v_cmp_gt_i32_e32 vcc, 1, v16
	v_cndmask_b32_e32 v10, v11, v10, vcc
	v_and_b32_e32 v11, 7, v10
	v_cmp_lt_i32_e32 vcc, 5, v11
	v_cmp_eq_u32_e64 s[2:3], 3, v11
	v_lshrrev_b32_e32 v14, 2, v10
	ds_read2_b32 v[10:11], v6 offset0:66 offset1:141
	s_or_b64 vcc, s[2:3], vcc
	v_addc_co_u32_e32 v14, vcc, 0, v14, vcc
	v_cmp_gt_i32_e32 vcc, 31, v16
	s_waitcnt lgkmcnt(0)
	v_lshrrev_b32_e32 v18, 16, v10
	v_cndmask_b32_e32 v17, v3, v14, vcc
	v_mul_f16_sdwa v14, v94, v18 dst_sel:DWORD dst_unused:UNUSED_PAD src0_sel:WORD_1 src1_sel:DWORD
	v_fma_f16 v14, v94, v10, v14
	v_cvt_f32_f16_e32 v14, v14
	v_cmp_ne_u32_e32 vcc, 0, v12
	v_cndmask_b32_e64 v12, 0, 1, vcc
	v_lshl_or_b32 v12, v12, 9, v3
	v_cvt_f64_f32_e32 v[14:15], v14
	v_cmp_eq_u32_e32 vcc, s11, v16
	v_cndmask_b32_e32 v12, v17, v12, vcc
	v_lshrrev_b32_e32 v13, 16, v13
	v_and_or_b32 v16, v13, s14, v12
	v_mul_f64 v[12:13], v[14:15], s[12:13]
	v_and_b32_e32 v0, 0xffff, v0
	v_add_co_u32_e32 v8, vcc, s6, v8
	v_lshl_or_b32 v0, v16, 16, v0
	v_addc_co_u32_e32 v9, vcc, v9, v1, vcc
	global_store_dword v[8:9], v0, off
	v_and_or_b32 v0, v13, s15, v12
	v_cmp_ne_u32_e32 vcc, 0, v0
	v_cndmask_b32_e64 v0, 0, 1, vcc
	v_lshrrev_b32_e32 v12, 8, v13
	v_bfe_u32 v14, v13, 20, 11
	v_and_or_b32 v0, v12, s10, v0
	v_sub_u32_e32 v15, 0x3f1, v14
	v_or_b32_e32 v12, 0x1000, v0
	v_med3_i32 v15, v15, 0, 13
	v_lshrrev_b32_e32 v16, v15, v12
	v_lshlrev_b32_e32 v15, v15, v16
	v_cmp_ne_u32_e32 vcc, v15, v12
	v_mul_f16_sdwa v10, v94, v10 dst_sel:DWORD dst_unused:UNUSED_PAD src0_sel:WORD_1 src1_sel:DWORD
	v_cndmask_b32_e64 v12, 0, 1, vcc
	v_fma_f16 v10, v94, v18, -v10
	v_or_b32_e32 v12, v16, v12
	v_add_u32_e32 v16, 0xfffffc10, v14
	v_cvt_f32_f16_e32 v10, v10
	v_lshl_or_b32 v14, v16, 12, v0
	v_cmp_gt_i32_e32 vcc, 1, v16
	v_cndmask_b32_e32 v12, v14, v12, vcc
	v_and_b32_e32 v14, 7, v12
	v_cmp_lt_i32_e32 vcc, 5, v14
	v_cmp_eq_u32_e64 s[2:3], 3, v14
	v_cvt_f64_f32_e32 v[14:15], v10
	v_lshrrev_b32_e32 v12, 2, v12
	s_or_b64 vcc, s[2:3], vcc
	v_addc_co_u32_e32 v10, vcc, 0, v12, vcc
	v_mul_f64 v[14:15], v[14:15], s[12:13]
	v_cmp_gt_i32_e32 vcc, 31, v16
	v_cndmask_b32_e32 v10, v3, v10, vcc
	v_cmp_ne_u32_e32 vcc, 0, v0
	v_cndmask_b32_e64 v0, 0, 1, vcc
	v_lshl_or_b32 v0, v0, 9, v3
	v_cmp_eq_u32_e32 vcc, s11, v16
	v_cndmask_b32_e32 v0, v10, v0, vcc
	v_lshrrev_b32_e32 v10, 16, v13
	v_and_or_b32 v0, v10, s14, v0
	v_and_or_b32 v10, v15, s15, v14
	v_cmp_ne_u32_e32 vcc, 0, v10
	v_cndmask_b32_e64 v10, 0, 1, vcc
	v_lshrrev_b32_e32 v12, 8, v15
	v_bfe_u32 v13, v15, 20, 11
	v_and_or_b32 v10, v12, s10, v10
	v_sub_u32_e32 v14, 0x3f1, v13
	v_or_b32_e32 v12, 0x1000, v10
	v_med3_i32 v14, v14, 0, 13
	v_lshrrev_b32_e32 v16, v14, v12
	v_lshlrev_b32_e32 v14, v14, v16
	v_cmp_ne_u32_e32 vcc, v14, v12
	v_cndmask_b32_e64 v12, 0, 1, vcc
	v_add_u32_e32 v14, 0xfffffc10, v13
	v_or_b32_e32 v12, v16, v12
	v_lshl_or_b32 v13, v14, 12, v10
	v_cmp_gt_i32_e32 vcc, 1, v14
	v_cndmask_b32_e32 v12, v13, v12, vcc
	v_and_b32_e32 v13, 7, v12
	v_cmp_lt_i32_e32 vcc, 5, v13
	v_cmp_eq_u32_e64 s[2:3], 3, v13
	v_lshrrev_b32_e32 v12, 2, v12
	s_or_b64 vcc, s[2:3], vcc
	v_addc_co_u32_e32 v12, vcc, 0, v12, vcc
	v_cmp_gt_i32_e32 vcc, 31, v14
	v_lshrrev_b32_e32 v17, 16, v11
	v_cndmask_b32_e32 v16, v3, v12, vcc
	v_mul_f16_sdwa v12, v93, v17 dst_sel:DWORD dst_unused:UNUSED_PAD src0_sel:WORD_1 src1_sel:DWORD
	v_fma_f16 v12, v93, v11, v12
	v_cvt_f32_f16_e32 v12, v12
	v_cmp_ne_u32_e32 vcc, 0, v10
	v_cndmask_b32_e64 v10, 0, 1, vcc
	v_lshl_or_b32 v10, v10, 9, v3
	v_cvt_f64_f32_e32 v[12:13], v12
	v_cmp_eq_u32_e32 vcc, s11, v14
	v_cndmask_b32_e32 v10, v16, v10, vcc
	v_lshrrev_b32_e32 v14, 16, v15
	v_mul_f64 v[12:13], v[12:13], s[12:13]
	v_and_or_b32 v10, v14, s14, v10
	v_and_b32_e32 v0, 0xffff, v0
	v_add_co_u32_e32 v8, vcc, s6, v8
	v_lshl_or_b32 v0, v10, 16, v0
	v_addc_co_u32_e32 v9, vcc, v9, v1, vcc
	global_store_dword v[8:9], v0, off
	v_and_or_b32 v0, v13, s15, v12
	v_cmp_ne_u32_e32 vcc, 0, v0
	v_cndmask_b32_e64 v0, 0, 1, vcc
	v_lshrrev_b32_e32 v10, 8, v13
	v_bfe_u32 v12, v13, 20, 11
	v_and_or_b32 v0, v10, s10, v0
	v_sub_u32_e32 v14, 0x3f1, v12
	v_or_b32_e32 v10, 0x1000, v0
	v_med3_i32 v14, v14, 0, 13
	v_lshrrev_b32_e32 v15, v14, v10
	v_lshlrev_b32_e32 v14, v14, v15
	v_mul_f16_sdwa v11, v93, v11 dst_sel:DWORD dst_unused:UNUSED_PAD src0_sel:WORD_1 src1_sel:DWORD
	v_cmp_ne_u32_e32 vcc, v14, v10
	v_fma_f16 v11, v93, v17, -v11
	v_cndmask_b32_e64 v10, 0, 1, vcc
	v_add_u32_e32 v12, 0xfffffc10, v12
	v_cvt_f32_f16_e32 v11, v11
	v_or_b32_e32 v10, v15, v10
	v_lshl_or_b32 v14, v12, 12, v0
	v_cmp_gt_i32_e32 vcc, 1, v12
	v_cndmask_b32_e32 v10, v14, v10, vcc
	v_and_b32_e32 v14, 7, v10
	v_cmp_lt_i32_e32 vcc, 5, v14
	v_cmp_eq_u32_e64 s[2:3], 3, v14
	v_lshrrev_b32_e32 v14, 2, v10
	v_cvt_f64_f32_e32 v[10:11], v11
	s_or_b64 vcc, s[2:3], vcc
	v_addc_co_u32_e32 v14, vcc, 0, v14, vcc
	v_mul_f64 v[10:11], v[10:11], s[12:13]
	v_cmp_gt_i32_e32 vcc, 31, v12
	v_cndmask_b32_e32 v14, v3, v14, vcc
	v_cmp_ne_u32_e32 vcc, 0, v0
	v_cndmask_b32_e64 v0, 0, 1, vcc
	v_lshl_or_b32 v0, v0, 9, v3
	v_cmp_eq_u32_e32 vcc, s11, v12
	v_cndmask_b32_e32 v0, v14, v0, vcc
	v_and_or_b32 v10, v11, s15, v10
	v_lshrrev_b32_e32 v12, 16, v13
	v_cmp_ne_u32_e32 vcc, 0, v10
	v_and_or_b32 v0, v12, s14, v0
	v_cndmask_b32_e64 v10, 0, 1, vcc
	v_lshrrev_b32_e32 v12, 8, v11
	v_bfe_u32 v13, v11, 20, 11
	v_and_or_b32 v10, v12, s10, v10
	v_sub_u32_e32 v14, 0x3f1, v13
	v_or_b32_e32 v12, 0x1000, v10
	v_med3_i32 v14, v14, 0, 13
	v_lshrrev_b32_e32 v15, v14, v12
	v_lshlrev_b32_e32 v14, v14, v15
	v_cmp_ne_u32_e32 vcc, v14, v12
	v_cndmask_b32_e64 v12, 0, 1, vcc
	v_add_u32_e32 v16, 0xfffffc10, v13
	v_or_b32_e32 v12, v15, v12
	v_lshl_or_b32 v13, v16, 12, v10
	v_cmp_gt_i32_e32 vcc, 1, v16
	v_cndmask_b32_e32 v12, v13, v12, vcc
	v_and_b32_e32 v13, 7, v12
	v_cmp_lt_i32_e32 vcc, 5, v13
	v_cmp_eq_u32_e64 s[2:3], 3, v13
	v_lshrrev_b32_e32 v14, 2, v12
	ds_read2_b32 v[12:13], v4 offset0:88 offset1:163
	s_or_b64 vcc, s[2:3], vcc
	v_addc_co_u32_e32 v14, vcc, 0, v14, vcc
	v_cmp_gt_i32_e32 vcc, 31, v16
	s_waitcnt lgkmcnt(0)
	v_lshrrev_b32_e32 v18, 16, v12
	v_cndmask_b32_e32 v17, v3, v14, vcc
	v_mul_f16_sdwa v14, v92, v18 dst_sel:DWORD dst_unused:UNUSED_PAD src0_sel:WORD_1 src1_sel:DWORD
	v_fma_f16 v14, v92, v12, v14
	v_cvt_f32_f16_e32 v14, v14
	v_cmp_ne_u32_e32 vcc, 0, v10
	v_cndmask_b32_e64 v10, 0, 1, vcc
	v_lshl_or_b32 v10, v10, 9, v3
	v_cvt_f64_f32_e32 v[14:15], v14
	v_cmp_eq_u32_e32 vcc, s11, v16
	v_cndmask_b32_e32 v10, v17, v10, vcc
	v_lshrrev_b32_e32 v11, 16, v11
	v_and_or_b32 v16, v11, s14, v10
	v_mul_f64 v[10:11], v[14:15], s[12:13]
	v_and_b32_e32 v0, 0xffff, v0
	v_add_co_u32_e32 v8, vcc, s6, v8
	v_lshl_or_b32 v0, v16, 16, v0
	v_addc_co_u32_e32 v9, vcc, v9, v1, vcc
	global_store_dword v[8:9], v0, off
	v_and_or_b32 v0, v11, s15, v10
	v_cmp_ne_u32_e32 vcc, 0, v0
	v_cndmask_b32_e64 v0, 0, 1, vcc
	v_lshrrev_b32_e32 v10, 8, v11
	v_bfe_u32 v14, v11, 20, 11
	v_and_or_b32 v0, v10, s10, v0
	v_sub_u32_e32 v15, 0x3f1, v14
	v_or_b32_e32 v10, 0x1000, v0
	v_med3_i32 v15, v15, 0, 13
	v_lshrrev_b32_e32 v16, v15, v10
	v_lshlrev_b32_e32 v15, v15, v16
	v_cmp_ne_u32_e32 vcc, v15, v10
	v_mul_f16_sdwa v12, v92, v12 dst_sel:DWORD dst_unused:UNUSED_PAD src0_sel:WORD_1 src1_sel:DWORD
	v_cndmask_b32_e64 v10, 0, 1, vcc
	v_fma_f16 v12, v92, v18, -v12
	v_or_b32_e32 v10, v16, v10
	v_add_u32_e32 v16, 0xfffffc10, v14
	v_cvt_f32_f16_e32 v12, v12
	v_lshl_or_b32 v14, v16, 12, v0
	v_cmp_gt_i32_e32 vcc, 1, v16
	v_cndmask_b32_e32 v10, v14, v10, vcc
	v_and_b32_e32 v14, 7, v10
	v_cmp_lt_i32_e32 vcc, 5, v14
	v_cmp_eq_u32_e64 s[2:3], 3, v14
	v_cvt_f64_f32_e32 v[14:15], v12
	v_lshrrev_b32_e32 v10, 2, v10
	s_or_b64 vcc, s[2:3], vcc
	v_addc_co_u32_e32 v10, vcc, 0, v10, vcc
	v_mul_f64 v[14:15], v[14:15], s[12:13]
	v_cmp_gt_i32_e32 vcc, 31, v16
	v_cndmask_b32_e32 v10, v3, v10, vcc
	v_cmp_ne_u32_e32 vcc, 0, v0
	v_cndmask_b32_e64 v0, 0, 1, vcc
	v_lshl_or_b32 v0, v0, 9, v3
	v_cmp_eq_u32_e32 vcc, s11, v16
	v_cndmask_b32_e32 v0, v10, v0, vcc
	v_lshrrev_b32_e32 v10, 16, v11
	v_and_or_b32 v0, v10, s14, v0
	v_and_or_b32 v10, v15, s15, v14
	v_cmp_ne_u32_e32 vcc, 0, v10
	v_cndmask_b32_e64 v10, 0, 1, vcc
	v_lshrrev_b32_e32 v11, 8, v15
	v_bfe_u32 v12, v15, 20, 11
	v_and_or_b32 v10, v11, s10, v10
	v_sub_u32_e32 v14, 0x3f1, v12
	v_or_b32_e32 v11, 0x1000, v10
	v_med3_i32 v14, v14, 0, 13
	v_lshrrev_b32_e32 v16, v14, v11
	v_lshlrev_b32_e32 v14, v14, v16
	v_cmp_ne_u32_e32 vcc, v14, v11
	v_cndmask_b32_e64 v11, 0, 1, vcc
	v_add_u32_e32 v12, 0xfffffc10, v12
	v_or_b32_e32 v11, v16, v11
	v_lshl_or_b32 v14, v12, 12, v10
	v_cmp_gt_i32_e32 vcc, 1, v12
	v_cndmask_b32_e32 v11, v14, v11, vcc
	v_and_b32_e32 v14, 7, v11
	v_cmp_lt_i32_e32 vcc, 5, v14
	v_cmp_eq_u32_e64 s[2:3], 3, v14
	v_lshrrev_b32_e32 v11, 2, v11
	s_or_b64 vcc, s[2:3], vcc
	v_addc_co_u32_e32 v11, vcc, 0, v11, vcc
	v_cmp_gt_i32_e32 vcc, 31, v12
	v_lshrrev_b32_e32 v16, 16, v13
	v_cndmask_b32_e32 v14, v3, v11, vcc
	v_mul_f16_sdwa v11, v91, v16 dst_sel:DWORD dst_unused:UNUSED_PAD src0_sel:WORD_1 src1_sel:DWORD
	v_fma_f16 v11, v91, v13, v11
	v_cvt_f32_f16_e32 v11, v11
	v_cmp_ne_u32_e32 vcc, 0, v10
	v_cndmask_b32_e64 v10, 0, 1, vcc
	v_lshl_or_b32 v17, v10, 9, v3
	v_cvt_f64_f32_e32 v[10:11], v11
	v_cmp_eq_u32_e32 vcc, s11, v12
	v_cndmask_b32_e32 v12, v14, v17, vcc
	v_lshrrev_b32_e32 v14, 16, v15
	v_mul_f64 v[10:11], v[10:11], s[12:13]
	v_and_or_b32 v12, v14, s14, v12
	v_and_b32_e32 v0, 0xffff, v0
	v_add_co_u32_e32 v8, vcc, s6, v8
	v_lshl_or_b32 v0, v12, 16, v0
	v_addc_co_u32_e32 v9, vcc, v9, v1, vcc
	global_store_dword v[8:9], v0, off
	v_and_or_b32 v0, v11, s15, v10
	v_cmp_ne_u32_e32 vcc, 0, v0
	v_cndmask_b32_e64 v0, 0, 1, vcc
	v_lshrrev_b32_e32 v10, 8, v11
	v_bfe_u32 v12, v11, 20, 11
	v_and_or_b32 v0, v10, s10, v0
	v_sub_u32_e32 v14, 0x3f1, v12
	v_or_b32_e32 v10, 0x1000, v0
	v_med3_i32 v14, v14, 0, 13
	v_lshrrev_b32_e32 v15, v14, v10
	v_lshlrev_b32_e32 v14, v14, v15
	v_mul_f16_sdwa v13, v91, v13 dst_sel:DWORD dst_unused:UNUSED_PAD src0_sel:WORD_1 src1_sel:DWORD
	v_cmp_ne_u32_e32 vcc, v14, v10
	v_fma_f16 v13, v91, v16, -v13
	v_cndmask_b32_e64 v10, 0, 1, vcc
	v_add_u32_e32 v14, 0xfffffc10, v12
	v_cvt_f32_f16_e32 v13, v13
	v_or_b32_e32 v10, v15, v10
	v_lshl_or_b32 v12, v14, 12, v0
	v_cmp_gt_i32_e32 vcc, 1, v14
	v_cndmask_b32_e32 v10, v12, v10, vcc
	v_and_b32_e32 v12, 7, v10
	v_cmp_lt_i32_e32 vcc, 5, v12
	v_cmp_eq_u32_e64 s[2:3], 3, v12
	v_cvt_f64_f32_e32 v[12:13], v13
	v_lshrrev_b32_e32 v10, 2, v10
	s_or_b64 vcc, s[2:3], vcc
	v_addc_co_u32_e32 v10, vcc, 0, v10, vcc
	v_mul_f64 v[12:13], v[12:13], s[12:13]
	v_cmp_gt_i32_e32 vcc, 31, v14
	v_cndmask_b32_e32 v10, v3, v10, vcc
	v_cmp_ne_u32_e32 vcc, 0, v0
	v_cndmask_b32_e64 v0, 0, 1, vcc
	v_lshl_or_b32 v0, v0, 9, v3
	v_cmp_eq_u32_e32 vcc, s11, v14
	v_cndmask_b32_e32 v0, v10, v0, vcc
	v_lshrrev_b32_e32 v10, 16, v11
	v_and_or_b32 v0, v10, s14, v0
	v_and_or_b32 v10, v13, s15, v12
	v_cmp_ne_u32_e32 vcc, 0, v10
	v_cndmask_b32_e64 v10, 0, 1, vcc
	v_lshrrev_b32_e32 v11, 8, v13
	v_and_or_b32 v12, v11, s10, v10
	v_bfe_u32 v11, v13, 20, 11
	v_sub_u32_e32 v14, 0x3f1, v11
	v_or_b32_e32 v10, 0x1000, v12
	v_med3_i32 v14, v14, 0, 13
	v_lshrrev_b32_e32 v15, v14, v10
	v_lshlrev_b32_e32 v14, v14, v15
	v_cmp_ne_u32_e32 vcc, v14, v10
	v_cndmask_b32_e64 v10, 0, 1, vcc
	v_add_u32_e32 v16, 0xfffffc10, v11
	v_or_b32_e32 v10, v15, v10
	v_lshl_or_b32 v11, v16, 12, v12
	v_cmp_gt_i32_e32 vcc, 1, v16
	v_cndmask_b32_e32 v10, v11, v10, vcc
	v_and_b32_e32 v11, 7, v10
	v_lshrrev_b32_e32 v14, 2, v10
	v_add_u32_e32 v10, 0xa00, v87
	v_cmp_lt_i32_e32 vcc, 5, v11
	v_cmp_eq_u32_e64 s[2:3], 3, v11
	ds_read2_b32 v[10:11], v10 offset0:110 offset1:185
	s_or_b64 vcc, s[2:3], vcc
	v_addc_co_u32_e32 v14, vcc, 0, v14, vcc
	v_cmp_gt_i32_e32 vcc, 31, v16
	s_waitcnt lgkmcnt(0)
	v_lshrrev_b32_e32 v18, 16, v10
	v_cndmask_b32_e32 v17, v3, v14, vcc
	v_mul_f16_sdwa v14, v90, v18 dst_sel:DWORD dst_unused:UNUSED_PAD src0_sel:WORD_1 src1_sel:DWORD
	v_fma_f16 v14, v90, v10, v14
	v_cvt_f32_f16_e32 v14, v14
	v_cmp_ne_u32_e32 vcc, 0, v12
	v_cndmask_b32_e64 v12, 0, 1, vcc
	v_lshl_or_b32 v12, v12, 9, v3
	v_cvt_f64_f32_e32 v[14:15], v14
	v_cmp_eq_u32_e32 vcc, s11, v16
	v_cndmask_b32_e32 v12, v17, v12, vcc
	v_lshrrev_b32_e32 v13, 16, v13
	v_and_or_b32 v16, v13, s14, v12
	v_mul_f64 v[12:13], v[14:15], s[12:13]
	v_and_b32_e32 v0, 0xffff, v0
	v_add_co_u32_e32 v8, vcc, s6, v8
	v_lshl_or_b32 v0, v16, 16, v0
	v_addc_co_u32_e32 v9, vcc, v9, v1, vcc
	global_store_dword v[8:9], v0, off
	v_and_or_b32 v0, v13, s15, v12
	v_cmp_ne_u32_e32 vcc, 0, v0
	v_cndmask_b32_e64 v0, 0, 1, vcc
	v_lshrrev_b32_e32 v12, 8, v13
	v_bfe_u32 v14, v13, 20, 11
	v_and_or_b32 v0, v12, s10, v0
	v_sub_u32_e32 v15, 0x3f1, v14
	v_or_b32_e32 v12, 0x1000, v0
	v_med3_i32 v15, v15, 0, 13
	v_lshrrev_b32_e32 v16, v15, v12
	v_lshlrev_b32_e32 v15, v15, v16
	v_cmp_ne_u32_e32 vcc, v15, v12
	v_mul_f16_sdwa v10, v90, v10 dst_sel:DWORD dst_unused:UNUSED_PAD src0_sel:WORD_1 src1_sel:DWORD
	v_cndmask_b32_e64 v12, 0, 1, vcc
	v_fma_f16 v10, v90, v18, -v10
	v_or_b32_e32 v12, v16, v12
	v_add_u32_e32 v16, 0xfffffc10, v14
	v_cvt_f32_f16_e32 v10, v10
	v_lshl_or_b32 v14, v16, 12, v0
	v_cmp_gt_i32_e32 vcc, 1, v16
	v_cndmask_b32_e32 v12, v14, v12, vcc
	v_and_b32_e32 v14, 7, v12
	v_cmp_lt_i32_e32 vcc, 5, v14
	v_cmp_eq_u32_e64 s[2:3], 3, v14
	v_cvt_f64_f32_e32 v[14:15], v10
	v_lshrrev_b32_e32 v12, 2, v12
	s_or_b64 vcc, s[2:3], vcc
	v_addc_co_u32_e32 v10, vcc, 0, v12, vcc
	v_mul_f64 v[14:15], v[14:15], s[12:13]
	v_cmp_gt_i32_e32 vcc, 31, v16
	v_cndmask_b32_e32 v10, v3, v10, vcc
	v_cmp_ne_u32_e32 vcc, 0, v0
	v_cndmask_b32_e64 v0, 0, 1, vcc
	v_lshl_or_b32 v0, v0, 9, v3
	v_cmp_eq_u32_e32 vcc, s11, v16
	v_cndmask_b32_e32 v0, v10, v0, vcc
	v_lshrrev_b32_e32 v10, 16, v13
	v_and_or_b32 v0, v10, s14, v0
	v_and_or_b32 v10, v15, s15, v14
	v_cmp_ne_u32_e32 vcc, 0, v10
	v_cndmask_b32_e64 v10, 0, 1, vcc
	v_lshrrev_b32_e32 v12, 8, v15
	v_bfe_u32 v13, v15, 20, 11
	v_and_or_b32 v10, v12, s10, v10
	v_sub_u32_e32 v14, 0x3f1, v13
	v_or_b32_e32 v12, 0x1000, v10
	v_med3_i32 v14, v14, 0, 13
	v_lshrrev_b32_e32 v16, v14, v12
	v_lshlrev_b32_e32 v14, v14, v16
	v_cmp_ne_u32_e32 vcc, v14, v12
	v_cndmask_b32_e64 v12, 0, 1, vcc
	v_add_u32_e32 v14, 0xfffffc10, v13
	v_or_b32_e32 v12, v16, v12
	v_lshl_or_b32 v13, v14, 12, v10
	v_cmp_gt_i32_e32 vcc, 1, v14
	v_cndmask_b32_e32 v12, v13, v12, vcc
	v_and_b32_e32 v13, 7, v12
	v_cmp_lt_i32_e32 vcc, 5, v13
	v_cmp_eq_u32_e64 s[2:3], 3, v13
	v_lshrrev_b32_e32 v12, 2, v12
	s_or_b64 vcc, s[2:3], vcc
	v_addc_co_u32_e32 v12, vcc, 0, v12, vcc
	v_cmp_gt_i32_e32 vcc, 31, v14
	v_lshrrev_b32_e32 v17, 16, v11
	v_cndmask_b32_e32 v16, v3, v12, vcc
	v_mul_f16_sdwa v12, v89, v17 dst_sel:DWORD dst_unused:UNUSED_PAD src0_sel:WORD_1 src1_sel:DWORD
	v_fma_f16 v12, v89, v11, v12
	v_cvt_f32_f16_e32 v12, v12
	v_cmp_ne_u32_e32 vcc, 0, v10
	v_cndmask_b32_e64 v10, 0, 1, vcc
	v_lshl_or_b32 v10, v10, 9, v3
	v_cvt_f64_f32_e32 v[12:13], v12
	v_cmp_eq_u32_e32 vcc, s11, v14
	v_cndmask_b32_e32 v10, v16, v10, vcc
	v_lshrrev_b32_e32 v14, 16, v15
	v_mul_f64 v[12:13], v[12:13], s[12:13]
	v_and_or_b32 v10, v14, s14, v10
	v_and_b32_e32 v0, 0xffff, v0
	v_add_co_u32_e32 v8, vcc, s6, v8
	v_lshl_or_b32 v0, v10, 16, v0
	v_addc_co_u32_e32 v9, vcc, v9, v1, vcc
	global_store_dword v[8:9], v0, off
	v_and_or_b32 v0, v13, s15, v12
	v_cmp_ne_u32_e32 vcc, 0, v0
	v_cndmask_b32_e64 v0, 0, 1, vcc
	v_lshrrev_b32_e32 v10, 8, v13
	v_bfe_u32 v12, v13, 20, 11
	v_and_or_b32 v0, v10, s10, v0
	v_sub_u32_e32 v14, 0x3f1, v12
	v_or_b32_e32 v10, 0x1000, v0
	v_med3_i32 v14, v14, 0, 13
	v_lshrrev_b32_e32 v15, v14, v10
	v_lshlrev_b32_e32 v14, v14, v15
	v_mul_f16_sdwa v11, v89, v11 dst_sel:DWORD dst_unused:UNUSED_PAD src0_sel:WORD_1 src1_sel:DWORD
	v_cmp_ne_u32_e32 vcc, v14, v10
	v_fma_f16 v11, v89, v17, -v11
	v_cndmask_b32_e64 v10, 0, 1, vcc
	v_add_u32_e32 v12, 0xfffffc10, v12
	v_cvt_f32_f16_e32 v11, v11
	v_or_b32_e32 v10, v15, v10
	v_lshl_or_b32 v14, v12, 12, v0
	v_cmp_gt_i32_e32 vcc, 1, v12
	v_cndmask_b32_e32 v10, v14, v10, vcc
	v_and_b32_e32 v14, 7, v10
	v_cmp_lt_i32_e32 vcc, 5, v14
	v_cmp_eq_u32_e64 s[2:3], 3, v14
	v_lshrrev_b32_e32 v14, 2, v10
	v_cvt_f64_f32_e32 v[10:11], v11
	s_or_b64 vcc, s[2:3], vcc
	v_addc_co_u32_e32 v14, vcc, 0, v14, vcc
	v_mul_f64 v[10:11], v[10:11], s[12:13]
	v_cmp_gt_i32_e32 vcc, 31, v12
	v_cndmask_b32_e32 v14, v3, v14, vcc
	v_cmp_ne_u32_e32 vcc, 0, v0
	v_cndmask_b32_e64 v0, 0, 1, vcc
	v_lshl_or_b32 v0, v0, 9, v3
	v_cmp_eq_u32_e32 vcc, s11, v12
	v_cndmask_b32_e32 v0, v14, v0, vcc
	v_and_or_b32 v10, v11, s15, v10
	v_lshrrev_b32_e32 v12, 16, v13
	v_cmp_ne_u32_e32 vcc, 0, v10
	v_and_or_b32 v0, v12, s14, v0
	v_cndmask_b32_e64 v10, 0, 1, vcc
	v_lshrrev_b32_e32 v12, 8, v11
	v_bfe_u32 v13, v11, 20, 11
	v_and_or_b32 v10, v12, s10, v10
	v_sub_u32_e32 v14, 0x3f1, v13
	v_or_b32_e32 v12, 0x1000, v10
	v_med3_i32 v14, v14, 0, 13
	v_lshrrev_b32_e32 v15, v14, v12
	v_lshlrev_b32_e32 v14, v14, v15
	v_cmp_ne_u32_e32 vcc, v14, v12
	v_cndmask_b32_e64 v12, 0, 1, vcc
	v_add_u32_e32 v14, 0xfffffc10, v13
	v_or_b32_e32 v12, v15, v12
	v_lshl_or_b32 v13, v14, 12, v10
	v_cmp_gt_i32_e32 vcc, 1, v14
	v_cndmask_b32_e32 v12, v13, v12, vcc
	ds_read_b32 v15, v87 offset:3600
	v_and_b32_e32 v13, 7, v12
	v_cmp_lt_i32_e32 vcc, 5, v13
	v_cmp_eq_u32_e64 s[2:3], 3, v13
	v_lshrrev_b32_e32 v12, 2, v12
	s_or_b64 vcc, s[2:3], vcc
	v_addc_co_u32_e32 v12, vcc, 0, v12, vcc
	v_cmp_gt_i32_e32 vcc, 31, v14
	s_waitcnt lgkmcnt(0)
	v_lshrrev_b32_e32 v17, 16, v15
	v_cndmask_b32_e32 v16, v3, v12, vcc
	v_mul_f16_sdwa v12, v88, v17 dst_sel:DWORD dst_unused:UNUSED_PAD src0_sel:WORD_1 src1_sel:DWORD
	v_fma_f16 v12, v88, v15, v12
	v_cvt_f32_f16_e32 v12, v12
	v_cmp_ne_u32_e32 vcc, 0, v10
	v_cndmask_b32_e64 v10, 0, 1, vcc
	v_lshl_or_b32 v10, v10, 9, v3
	v_cvt_f64_f32_e32 v[12:13], v12
	v_cmp_eq_u32_e32 vcc, s11, v14
	v_cndmask_b32_e32 v10, v16, v10, vcc
	v_lshrrev_b32_e32 v11, 16, v11
	v_and_or_b32 v14, v11, s14, v10
	v_mul_f64 v[10:11], v[12:13], s[12:13]
	v_and_b32_e32 v0, 0xffff, v0
	v_add_co_u32_e32 v8, vcc, s6, v8
	v_lshl_or_b32 v0, v14, 16, v0
	v_addc_co_u32_e32 v9, vcc, v9, v1, vcc
	global_store_dword v[8:9], v0, off
	v_and_or_b32 v0, v11, s15, v10
	v_cmp_ne_u32_e32 vcc, 0, v0
	v_cndmask_b32_e64 v0, 0, 1, vcc
	v_lshrrev_b32_e32 v10, 8, v11
	v_bfe_u32 v12, v11, 20, 11
	v_and_or_b32 v0, v10, s10, v0
	v_sub_u32_e32 v13, 0x3f1, v12
	v_or_b32_e32 v10, 0x1000, v0
	v_med3_i32 v13, v13, 0, 13
	v_lshrrev_b32_e32 v14, v13, v10
	v_lshlrev_b32_e32 v13, v13, v14
	v_cmp_ne_u32_e32 vcc, v13, v10
	v_mul_f16_sdwa v13, v88, v15 dst_sel:DWORD dst_unused:UNUSED_PAD src0_sel:WORD_1 src1_sel:DWORD
	v_cndmask_b32_e64 v10, 0, 1, vcc
	v_fma_f16 v13, v88, v17, -v13
	v_or_b32_e32 v10, v14, v10
	v_add_u32_e32 v14, 0xfffffc10, v12
	v_cvt_f32_f16_e32 v13, v13
	v_lshl_or_b32 v12, v14, 12, v0
	v_cmp_gt_i32_e32 vcc, 1, v14
	v_cndmask_b32_e32 v10, v12, v10, vcc
	v_and_b32_e32 v12, 7, v10
	v_cmp_lt_i32_e32 vcc, 5, v12
	v_cmp_eq_u32_e64 s[2:3], 3, v12
	v_cvt_f64_f32_e32 v[12:13], v13
	v_lshrrev_b32_e32 v10, 2, v10
	s_or_b64 vcc, s[2:3], vcc
	v_addc_co_u32_e32 v10, vcc, 0, v10, vcc
	v_mul_f64 v[12:13], v[12:13], s[12:13]
	v_cmp_gt_i32_e32 vcc, 31, v14
	v_cndmask_b32_e32 v10, v3, v10, vcc
	v_cmp_ne_u32_e32 vcc, 0, v0
	v_cndmask_b32_e64 v0, 0, 1, vcc
	v_lshl_or_b32 v0, v0, 9, v3
	v_cmp_eq_u32_e32 vcc, s11, v14
	v_cndmask_b32_e32 v0, v10, v0, vcc
	v_lshrrev_b32_e32 v10, 16, v11
	v_and_or_b32 v0, v10, s14, v0
	v_and_or_b32 v10, v13, s15, v12
	v_cmp_ne_u32_e32 vcc, 0, v10
	v_cndmask_b32_e64 v10, 0, 1, vcc
	v_lshrrev_b32_e32 v11, 8, v13
	v_bfe_u32 v12, v13, 20, 11
	v_and_or_b32 v10, v11, s10, v10
	v_sub_u32_e32 v14, 0x3f1, v12
	v_or_b32_e32 v11, 0x1000, v10
	v_med3_i32 v14, v14, 0, 13
	v_lshrrev_b32_e32 v15, v14, v11
	v_lshlrev_b32_e32 v14, v14, v15
	v_cmp_ne_u32_e32 vcc, v14, v11
	v_cndmask_b32_e64 v11, 0, 1, vcc
	v_add_u32_e32 v12, 0xfffffc10, v12
	v_or_b32_e32 v11, v15, v11
	v_lshl_or_b32 v14, v12, 12, v10
	v_cmp_gt_i32_e32 vcc, 1, v12
	v_cndmask_b32_e32 v11, v14, v11, vcc
	v_and_b32_e32 v14, 7, v11
	v_cmp_lt_i32_e32 vcc, 5, v14
	v_cmp_eq_u32_e64 s[2:3], 3, v14
	v_lshrrev_b32_e32 v11, 2, v11
	s_or_b64 vcc, s[2:3], vcc
	v_addc_co_u32_e32 v11, vcc, 0, v11, vcc
	v_cmp_gt_i32_e32 vcc, 31, v12
	v_cndmask_b32_e32 v11, v3, v11, vcc
	v_cmp_ne_u32_e32 vcc, 0, v10
	v_cndmask_b32_e64 v10, 0, 1, vcc
	v_lshl_or_b32 v10, v10, 9, v3
	v_cmp_eq_u32_e32 vcc, s11, v12
	v_cndmask_b32_e32 v10, v11, v10, vcc
	v_lshrrev_b32_e32 v11, 16, v13
	v_and_or_b32 v10, v11, s14, v10
	v_and_b32_e32 v0, 0xffff, v0
	v_lshl_or_b32 v10, v10, 16, v0
	v_add_co_u32_e32 v0, vcc, s6, v8
	v_addc_co_u32_e32 v1, vcc, v9, v1, vcc
	global_store_dword v[0:1], v10, off
	s_and_b64 exec, exec, s[0:1]
	s_cbranch_execz .LBB0_23
; %bb.22:
	global_load_dword v10, v[40:41], off offset:156
	ds_read2_b32 v[8:9], v87 offset0:39 offset1:114
	s_waitcnt lgkmcnt(0)
	v_lshrrev_b32_e32 v11, 16, v8
	s_waitcnt vmcnt(0)
	v_mul_f16_sdwa v12, v11, v10 dst_sel:DWORD dst_unused:UNUSED_PAD src0_sel:DWORD src1_sel:WORD_1
	v_fma_f16 v12, v8, v10, v12
	v_mul_f16_sdwa v8, v8, v10 dst_sel:DWORD dst_unused:UNUSED_PAD src0_sel:DWORD src1_sel:WORD_1
	v_cvt_f32_f16_e32 v12, v12
	v_fma_f16 v8, v10, v11, -v8
	v_cvt_f32_f16_e32 v8, v8
	v_cvt_f64_f32_e32 v[10:11], v12
	v_cvt_f64_f32_e32 v[12:13], v8
	v_mov_b32_e32 v8, 0xfffff28c
	v_mul_f64 v[10:11], v[10:11], s[12:13]
	v_mad_u64_u32 v[14:15], s[0:1], s8, v8, v[0:1]
	v_mul_f64 v[0:1], v[12:13], s[12:13]
	s_mul_i32 s0, s9, 0xfffff28c
	s_sub_i32 s0, s0, s8
	v_add_u32_e32 v15, s0, v15
	v_and_or_b32 v8, v11, s15, v10
	v_cmp_ne_u32_e32 vcc, 0, v8
	v_lshrrev_b32_e32 v10, 8, v11
	v_and_or_b32 v0, v1, s15, v0
	v_bfe_u32 v12, v11, 20, 11
	v_cndmask_b32_e64 v8, 0, 1, vcc
	v_cmp_ne_u32_e32 vcc, 0, v0
	v_lshrrev_b32_e32 v13, 8, v1
	v_bfe_u32 v16, v1, 20, 11
	v_sub_u32_e32 v17, 0x3f1, v12
	v_cndmask_b32_e64 v0, 0, 1, vcc
	v_and_or_b32 v8, v10, s10, v8
	v_sub_u32_e32 v18, 0x3f1, v16
	v_med3_i32 v10, v17, 0, 13
	v_and_or_b32 v0, v13, s10, v0
	v_or_b32_e32 v17, 0x1000, v8
	v_add_u32_e32 v12, 0xfffffc10, v12
	v_med3_i32 v13, v18, 0, 13
	v_cmp_ne_u32_e32 vcc, 0, v8
	v_or_b32_e32 v19, 0x1000, v0
	v_lshrrev_b32_e32 v21, v10, v17
	v_add_u32_e32 v16, 0xfffffc10, v16
	v_lshl_or_b32 v18, v12, 12, v8
	v_cndmask_b32_e64 v8, 0, 1, vcc
	v_cmp_ne_u32_e32 vcc, 0, v0
	v_lshrrev_b32_e32 v22, v13, v19
	v_lshlrev_b32_e32 v10, v10, v21
	v_lshl_or_b32 v20, v16, 12, v0
	v_cndmask_b32_e64 v0, 0, 1, vcc
	v_lshlrev_b32_e32 v13, v13, v22
	v_cmp_ne_u32_e32 vcc, v10, v17
	v_cndmask_b32_e64 v10, 0, 1, vcc
	v_cmp_ne_u32_e32 vcc, v13, v19
	v_cndmask_b32_e64 v13, 0, 1, vcc
	v_or_b32_e32 v10, v21, v10
	v_cmp_gt_i32_e32 vcc, 1, v12
	v_cndmask_b32_e32 v10, v18, v10, vcc
	v_or_b32_e32 v13, v22, v13
	v_cmp_gt_i32_e32 vcc, 1, v16
	v_and_b32_e32 v17, 7, v10
	v_cndmask_b32_e32 v13, v20, v13, vcc
	v_cmp_lt_i32_e32 vcc, 5, v17
	v_cmp_eq_u32_e64 s[0:1], 3, v17
	v_lshrrev_b32_e32 v10, 2, v10
	v_and_b32_e32 v18, 7, v13
	s_or_b64 vcc, s[0:1], vcc
	v_cmp_lt_i32_e64 s[2:3], 5, v18
	v_cmp_eq_u32_e64 s[4:5], 3, v18
	v_addc_co_u32_e32 v10, vcc, 0, v10, vcc
	v_lshrrev_b32_e32 v13, 2, v13
	s_or_b64 vcc, s[4:5], s[2:3]
	v_addc_co_u32_e32 v13, vcc, 0, v13, vcc
	v_cmp_gt_i32_e32 vcc, 31, v12
	v_cndmask_b32_e32 v10, v3, v10, vcc
	v_cmp_gt_i32_e32 vcc, 31, v16
	v_lshl_or_b32 v8, v8, 9, v3
	v_cndmask_b32_e32 v13, v3, v13, vcc
	v_cmp_eq_u32_e32 vcc, s11, v12
	v_lshrrev_b32_e32 v11, 16, v11
	v_lshl_or_b32 v0, v0, 9, v3
	v_cndmask_b32_e32 v8, v10, v8, vcc
	v_cmp_eq_u32_e32 vcc, s11, v16
	v_lshrrev_b32_e32 v1, 16, v1
	v_cndmask_b32_e32 v0, v13, v0, vcc
	v_and_or_b32 v8, v11, s14, v8
	v_and_or_b32 v0, v1, s14, v0
	v_and_b32_e32 v1, 0xffff, v8
	v_lshl_or_b32 v0, v0, 16, v1
	global_store_dword v[14:15], v0, off
	global_load_dword v0, v[40:41], off offset:456
	v_lshrrev_b32_e32 v1, 16, v9
	v_add_co_u32_e32 v12, vcc, s6, v14
	s_waitcnt vmcnt(0)
	v_mul_f16_sdwa v8, v1, v0 dst_sel:DWORD dst_unused:UNUSED_PAD src0_sel:DWORD src1_sel:WORD_1
	v_fma_f16 v8, v9, v0, v8
	v_mul_f16_sdwa v9, v9, v0 dst_sel:DWORD dst_unused:UNUSED_PAD src0_sel:DWORD src1_sel:WORD_1
	v_cvt_f32_f16_e32 v8, v8
	v_fma_f16 v0, v0, v1, -v9
	v_cvt_f32_f16_e32 v9, v0
	v_cvt_f64_f32_e32 v[0:1], v8
	v_cvt_f64_f32_e32 v[8:9], v9
	v_mul_f64 v[10:11], v[0:1], s[12:13]
	v_mov_b32_e32 v0, s7
	v_mul_f64 v[8:9], v[8:9], s[12:13]
	v_addc_co_u32_e32 v13, vcc, v15, v0, vcc
	v_and_or_b32 v1, v11, s15, v10
	v_cmp_ne_u32_e32 vcc, 0, v1
	v_and_or_b32 v8, v9, s15, v8
	v_lshrrev_b32_e32 v10, 8, v11
	v_bfe_u32 v14, v11, 20, 11
	v_cndmask_b32_e64 v1, 0, 1, vcc
	v_cmp_ne_u32_e32 vcc, 0, v8
	v_lshrrev_b32_e32 v15, 8, v9
	v_bfe_u32 v16, v9, 20, 11
	v_sub_u32_e32 v17, 0x3f1, v14
	v_cndmask_b32_e64 v8, 0, 1, vcc
	v_and_or_b32 v1, v10, s10, v1
	v_sub_u32_e32 v18, 0x3f1, v16
	v_med3_i32 v10, v17, 0, 13
	v_and_or_b32 v8, v15, s10, v8
	v_or_b32_e32 v17, 0x1000, v1
	v_add_u32_e32 v14, 0xfffffc10, v14
	v_med3_i32 v15, v18, 0, 13
	v_cmp_ne_u32_e32 vcc, 0, v1
	v_or_b32_e32 v19, 0x1000, v8
	v_lshrrev_b32_e32 v21, v10, v17
	v_add_u32_e32 v16, 0xfffffc10, v16
	v_lshl_or_b32 v18, v14, 12, v1
	v_cndmask_b32_e64 v1, 0, 1, vcc
	v_cmp_ne_u32_e32 vcc, 0, v8
	v_lshrrev_b32_e32 v22, v15, v19
	v_lshlrev_b32_e32 v10, v10, v21
	v_lshl_or_b32 v20, v16, 12, v8
	v_cndmask_b32_e64 v8, 0, 1, vcc
	v_lshlrev_b32_e32 v15, v15, v22
	v_cmp_ne_u32_e32 vcc, v10, v17
	v_cndmask_b32_e64 v10, 0, 1, vcc
	v_cmp_ne_u32_e32 vcc, v15, v19
	v_cndmask_b32_e64 v15, 0, 1, vcc
	v_or_b32_e32 v10, v21, v10
	v_cmp_gt_i32_e32 vcc, 1, v14
	v_cndmask_b32_e32 v10, v18, v10, vcc
	v_or_b32_e32 v15, v22, v15
	v_cmp_gt_i32_e32 vcc, 1, v16
	v_and_b32_e32 v17, 7, v10
	v_cndmask_b32_e32 v15, v20, v15, vcc
	v_cmp_lt_i32_e32 vcc, 5, v17
	v_cmp_eq_u32_e64 s[0:1], 3, v17
	v_lshrrev_b32_e32 v10, 2, v10
	v_and_b32_e32 v18, 7, v15
	s_or_b64 vcc, s[0:1], vcc
	v_cmp_lt_i32_e64 s[2:3], 5, v18
	v_cmp_eq_u32_e64 s[4:5], 3, v18
	v_addc_co_u32_e32 v10, vcc, 0, v10, vcc
	v_lshrrev_b32_e32 v15, 2, v15
	s_or_b64 vcc, s[4:5], s[2:3]
	v_addc_co_u32_e32 v15, vcc, 0, v15, vcc
	v_cmp_gt_i32_e32 vcc, 31, v14
	v_cndmask_b32_e32 v10, v3, v10, vcc
	v_cmp_gt_i32_e32 vcc, 31, v16
	v_lshl_or_b32 v1, v1, 9, v3
	v_cndmask_b32_e32 v15, v3, v15, vcc
	v_cmp_eq_u32_e32 vcc, s11, v14
	v_lshrrev_b32_e32 v11, 16, v11
	v_lshl_or_b32 v8, v8, 9, v3
	v_cndmask_b32_e32 v1, v10, v1, vcc
	v_cmp_eq_u32_e32 vcc, s11, v16
	v_lshrrev_b32_e32 v9, 16, v9
	v_cndmask_b32_e32 v8, v15, v8, vcc
	v_and_or_b32 v1, v11, s14, v1
	v_and_or_b32 v8, v9, s14, v8
	v_and_b32_e32 v1, 0xffff, v1
	v_lshl_or_b32 v1, v8, 16, v1
	global_store_dword v[12:13], v1, off
	global_load_dword v1, v[40:41], off offset:756
	ds_read2_b32 v[7:8], v7 offset0:61 offset1:136
	v_add_co_u32_e32 v11, vcc, s6, v12
	v_addc_co_u32_e32 v12, vcc, v13, v0, vcc
	s_waitcnt lgkmcnt(0)
	v_lshrrev_b32_e32 v9, 16, v7
	s_waitcnt vmcnt(0)
	v_mul_f16_sdwa v10, v9, v1 dst_sel:DWORD dst_unused:UNUSED_PAD src0_sel:DWORD src1_sel:WORD_1
	v_fma_f16 v10, v7, v1, v10
	v_mul_f16_sdwa v7, v7, v1 dst_sel:DWORD dst_unused:UNUSED_PAD src0_sel:DWORD src1_sel:WORD_1
	v_cvt_f32_f16_e32 v10, v10
	v_fma_f16 v1, v1, v9, -v7
	v_cvt_f32_f16_e32 v1, v1
	v_cvt_f64_f32_e32 v[9:10], v10
	v_cvt_f64_f32_e32 v[14:15], v1
	v_mul_f64 v[9:10], v[9:10], s[12:13]
	v_mul_f64 v[14:15], v[14:15], s[12:13]
	v_and_or_b32 v1, v10, s15, v9
	v_cmp_ne_u32_e32 vcc, 0, v1
	v_and_or_b32 v13, v15, s15, v14
	v_lshrrev_b32_e32 v7, 8, v10
	v_bfe_u32 v9, v10, 20, 11
	v_cndmask_b32_e64 v1, 0, 1, vcc
	v_cmp_ne_u32_e32 vcc, 0, v13
	v_lshrrev_b32_e32 v14, 8, v15
	v_bfe_u32 v16, v15, 20, 11
	v_sub_u32_e32 v17, 0x3f1, v9
	v_cndmask_b32_e64 v13, 0, 1, vcc
	v_and_or_b32 v1, v7, s10, v1
	v_sub_u32_e32 v18, 0x3f1, v16
	v_med3_i32 v7, v17, 0, 13
	v_and_or_b32 v13, v14, s10, v13
	v_or_b32_e32 v17, 0x1000, v1
	v_add_u32_e32 v9, 0xfffffc10, v9
	v_med3_i32 v14, v18, 0, 13
	v_cmp_ne_u32_e32 vcc, 0, v1
	v_or_b32_e32 v19, 0x1000, v13
	v_lshrrev_b32_e32 v21, v7, v17
	v_add_u32_e32 v16, 0xfffffc10, v16
	v_lshl_or_b32 v18, v9, 12, v1
	v_cndmask_b32_e64 v1, 0, 1, vcc
	v_cmp_ne_u32_e32 vcc, 0, v13
	v_lshrrev_b32_e32 v22, v14, v19
	v_lshlrev_b32_e32 v7, v7, v21
	v_lshl_or_b32 v20, v16, 12, v13
	v_cndmask_b32_e64 v13, 0, 1, vcc
	v_lshlrev_b32_e32 v14, v14, v22
	v_cmp_ne_u32_e32 vcc, v7, v17
	v_cndmask_b32_e64 v7, 0, 1, vcc
	v_cmp_ne_u32_e32 vcc, v14, v19
	v_cndmask_b32_e64 v14, 0, 1, vcc
	v_or_b32_e32 v7, v21, v7
	v_cmp_gt_i32_e32 vcc, 1, v9
	v_cndmask_b32_e32 v7, v18, v7, vcc
	v_or_b32_e32 v14, v22, v14
	v_cmp_gt_i32_e32 vcc, 1, v16
	v_and_b32_e32 v17, 7, v7
	v_cndmask_b32_e32 v14, v20, v14, vcc
	v_cmp_lt_i32_e32 vcc, 5, v17
	v_cmp_eq_u32_e64 s[0:1], 3, v17
	v_lshrrev_b32_e32 v7, 2, v7
	v_and_b32_e32 v18, 7, v14
	s_or_b64 vcc, s[0:1], vcc
	v_cmp_lt_i32_e64 s[2:3], 5, v18
	v_cmp_eq_u32_e64 s[4:5], 3, v18
	v_addc_co_u32_e32 v7, vcc, 0, v7, vcc
	v_lshrrev_b32_e32 v14, 2, v14
	s_or_b64 vcc, s[4:5], s[2:3]
	v_addc_co_u32_e32 v14, vcc, 0, v14, vcc
	v_cmp_gt_i32_e32 vcc, 31, v9
	v_cndmask_b32_e32 v7, v3, v7, vcc
	v_cmp_gt_i32_e32 vcc, 31, v16
	v_lshl_or_b32 v1, v1, 9, v3
	v_cndmask_b32_e32 v14, v3, v14, vcc
	v_cmp_eq_u32_e32 vcc, s11, v9
	v_lshrrev_b32_e32 v10, 16, v10
	v_lshl_or_b32 v13, v13, 9, v3
	v_cndmask_b32_e32 v1, v7, v1, vcc
	v_cmp_eq_u32_e32 vcc, s11, v16
	v_lshrrev_b32_e32 v15, 16, v15
	v_cndmask_b32_e32 v7, v14, v13, vcc
	v_and_or_b32 v1, v10, s14, v1
	v_and_or_b32 v7, v15, s14, v7
	v_and_b32_e32 v1, 0xffff, v1
	v_lshl_or_b32 v1, v7, 16, v1
	global_store_dword v[11:12], v1, off
	global_load_dword v1, v[40:41], off offset:1056
	v_lshrrev_b32_e32 v7, 16, v8
	v_add_co_u32_e32 v11, vcc, s6, v11
	v_addc_co_u32_e32 v12, vcc, v12, v0, vcc
	s_waitcnt vmcnt(0)
	v_mul_f16_sdwa v9, v7, v1 dst_sel:DWORD dst_unused:UNUSED_PAD src0_sel:DWORD src1_sel:WORD_1
	v_fma_f16 v9, v8, v1, v9
	v_mul_f16_sdwa v8, v8, v1 dst_sel:DWORD dst_unused:UNUSED_PAD src0_sel:DWORD src1_sel:WORD_1
	v_cvt_f32_f16_e32 v9, v9
	v_fma_f16 v1, v1, v7, -v8
	v_cvt_f32_f16_e32 v1, v1
	v_cvt_f64_f32_e32 v[7:8], v9
	v_cvt_f64_f32_e32 v[9:10], v1
	v_mul_f64 v[7:8], v[7:8], s[12:13]
	v_mul_f64 v[9:10], v[9:10], s[12:13]
	v_and_or_b32 v1, v8, s15, v7
	v_cmp_ne_u32_e32 vcc, 0, v1
	v_and_or_b32 v9, v10, s15, v9
	v_lshrrev_b32_e32 v7, 8, v8
	v_bfe_u32 v13, v8, 20, 11
	v_cndmask_b32_e64 v1, 0, 1, vcc
	v_cmp_ne_u32_e32 vcc, 0, v9
	v_lshrrev_b32_e32 v14, 8, v10
	v_bfe_u32 v15, v10, 20, 11
	v_sub_u32_e32 v16, 0x3f1, v13
	v_cndmask_b32_e64 v9, 0, 1, vcc
	v_and_or_b32 v1, v7, s10, v1
	v_sub_u32_e32 v17, 0x3f1, v15
	v_med3_i32 v7, v16, 0, 13
	v_and_or_b32 v9, v14, s10, v9
	v_or_b32_e32 v16, 0x1000, v1
	v_add_u32_e32 v13, 0xfffffc10, v13
	v_med3_i32 v14, v17, 0, 13
	v_cmp_ne_u32_e32 vcc, 0, v1
	v_or_b32_e32 v18, 0x1000, v9
	v_lshrrev_b32_e32 v20, v7, v16
	v_add_u32_e32 v15, 0xfffffc10, v15
	v_lshl_or_b32 v17, v13, 12, v1
	v_cndmask_b32_e64 v1, 0, 1, vcc
	v_cmp_ne_u32_e32 vcc, 0, v9
	v_lshrrev_b32_e32 v21, v14, v18
	v_lshlrev_b32_e32 v7, v7, v20
	v_lshl_or_b32 v19, v15, 12, v9
	v_cndmask_b32_e64 v9, 0, 1, vcc
	v_lshlrev_b32_e32 v14, v14, v21
	v_cmp_ne_u32_e32 vcc, v7, v16
	v_cndmask_b32_e64 v7, 0, 1, vcc
	v_cmp_ne_u32_e32 vcc, v14, v18
	v_cndmask_b32_e64 v14, 0, 1, vcc
	v_or_b32_e32 v7, v20, v7
	v_cmp_gt_i32_e32 vcc, 1, v13
	v_cndmask_b32_e32 v7, v17, v7, vcc
	v_or_b32_e32 v14, v21, v14
	v_cmp_gt_i32_e32 vcc, 1, v15
	v_and_b32_e32 v16, 7, v7
	v_cndmask_b32_e32 v14, v19, v14, vcc
	v_cmp_lt_i32_e32 vcc, 5, v16
	v_cmp_eq_u32_e64 s[0:1], 3, v16
	v_lshrrev_b32_e32 v7, 2, v7
	v_and_b32_e32 v17, 7, v14
	s_or_b64 vcc, s[0:1], vcc
	v_cmp_lt_i32_e64 s[2:3], 5, v17
	v_cmp_eq_u32_e64 s[4:5], 3, v17
	v_addc_co_u32_e32 v7, vcc, 0, v7, vcc
	v_lshrrev_b32_e32 v14, 2, v14
	s_or_b64 vcc, s[4:5], s[2:3]
	v_addc_co_u32_e32 v14, vcc, 0, v14, vcc
	v_cmp_gt_i32_e32 vcc, 31, v13
	v_cndmask_b32_e32 v7, v3, v7, vcc
	v_cmp_gt_i32_e32 vcc, 31, v15
	v_lshl_or_b32 v1, v1, 9, v3
	v_cndmask_b32_e32 v14, v3, v14, vcc
	v_cmp_eq_u32_e32 vcc, s11, v13
	v_lshrrev_b32_e32 v8, 16, v8
	v_lshl_or_b32 v9, v9, 9, v3
	v_cndmask_b32_e32 v1, v7, v1, vcc
	v_cmp_eq_u32_e32 vcc, s11, v15
	v_lshrrev_b32_e32 v10, 16, v10
	v_cndmask_b32_e32 v7, v14, v9, vcc
	v_and_or_b32 v1, v8, s14, v1
	v_and_or_b32 v7, v10, s14, v7
	v_and_b32_e32 v1, 0xffff, v1
	v_lshl_or_b32 v1, v7, 16, v1
	global_store_dword v[11:12], v1, off
	global_load_dword v1, v[40:41], off offset:1356
	ds_read2_b32 v[7:8], v5 offset0:83 offset1:158
	v_add_co_u32_e32 v11, vcc, s6, v11
	v_addc_co_u32_e32 v12, vcc, v12, v0, vcc
	s_waitcnt lgkmcnt(0)
	v_lshrrev_b32_e32 v5, 16, v7
	s_waitcnt vmcnt(0)
	v_mul_f16_sdwa v9, v5, v1 dst_sel:DWORD dst_unused:UNUSED_PAD src0_sel:DWORD src1_sel:WORD_1
	v_fma_f16 v9, v7, v1, v9
	v_mul_f16_sdwa v7, v7, v1 dst_sel:DWORD dst_unused:UNUSED_PAD src0_sel:DWORD src1_sel:WORD_1
	v_cvt_f32_f16_e32 v9, v9
	v_fma_f16 v1, v1, v5, -v7
	v_cvt_f32_f16_e32 v1, v1
	v_cvt_f64_f32_e32 v[9:10], v9
	v_cvt_f64_f32_e32 v[13:14], v1
	v_mul_f64 v[9:10], v[9:10], s[12:13]
	v_mul_f64 v[13:14], v[13:14], s[12:13]
	v_and_or_b32 v1, v10, s15, v9
	v_lshrrev_b32_e32 v5, 8, v10
	v_bfe_u32 v7, v10, 20, 11
	v_lshrrev_b32_e32 v9, 16, v10
	v_and_or_b32 v10, v14, s15, v13
	v_cmp_ne_u32_e32 vcc, 0, v1
	v_cndmask_b32_e64 v1, 0, 1, vcc
	v_cmp_ne_u32_e32 vcc, 0, v10
	v_lshrrev_b32_e32 v13, 8, v14
	v_bfe_u32 v15, v14, 20, 11
	v_sub_u32_e32 v16, 0x3f1, v7
	v_cndmask_b32_e64 v10, 0, 1, vcc
	v_and_or_b32 v1, v5, s10, v1
	v_sub_u32_e32 v17, 0x3f1, v15
	v_med3_i32 v5, v16, 0, 13
	v_and_or_b32 v10, v13, s10, v10
	v_or_b32_e32 v16, 0x1000, v1
	v_add_u32_e32 v7, 0xfffffc10, v7
	v_med3_i32 v13, v17, 0, 13
	v_cmp_ne_u32_e32 vcc, 0, v1
	v_or_b32_e32 v18, 0x1000, v10
	v_lshrrev_b32_e32 v20, v5, v16
	v_add_u32_e32 v15, 0xfffffc10, v15
	v_lshl_or_b32 v17, v7, 12, v1
	v_cndmask_b32_e64 v1, 0, 1, vcc
	v_cmp_ne_u32_e32 vcc, 0, v10
	v_lshrrev_b32_e32 v21, v13, v18
	v_lshlrev_b32_e32 v5, v5, v20
	v_lshl_or_b32 v19, v15, 12, v10
	v_cndmask_b32_e64 v10, 0, 1, vcc
	v_lshlrev_b32_e32 v13, v13, v21
	v_cmp_ne_u32_e32 vcc, v5, v16
	v_cndmask_b32_e64 v5, 0, 1, vcc
	v_cmp_ne_u32_e32 vcc, v13, v18
	v_cndmask_b32_e64 v13, 0, 1, vcc
	v_or_b32_e32 v5, v20, v5
	v_cmp_gt_i32_e32 vcc, 1, v7
	v_cndmask_b32_e32 v5, v17, v5, vcc
	v_or_b32_e32 v13, v21, v13
	v_cmp_gt_i32_e32 vcc, 1, v15
	v_and_b32_e32 v16, 7, v5
	v_cndmask_b32_e32 v13, v19, v13, vcc
	v_cmp_lt_i32_e32 vcc, 5, v16
	v_cmp_eq_u32_e64 s[0:1], 3, v16
	v_lshrrev_b32_e32 v5, 2, v5
	v_and_b32_e32 v17, 7, v13
	s_or_b64 vcc, s[0:1], vcc
	v_cmp_lt_i32_e64 s[2:3], 5, v17
	v_cmp_eq_u32_e64 s[4:5], 3, v17
	v_addc_co_u32_e32 v5, vcc, 0, v5, vcc
	v_lshrrev_b32_e32 v13, 2, v13
	s_or_b64 vcc, s[4:5], s[2:3]
	v_addc_co_u32_e32 v13, vcc, 0, v13, vcc
	v_cmp_gt_i32_e32 vcc, 31, v7
	v_cndmask_b32_e32 v5, v3, v5, vcc
	v_cmp_gt_i32_e32 vcc, 31, v15
	v_lshl_or_b32 v1, v1, 9, v3
	v_cndmask_b32_e32 v13, v3, v13, vcc
	v_cmp_eq_u32_e32 vcc, s11, v7
	v_lshl_or_b32 v10, v10, 9, v3
	v_cndmask_b32_e32 v1, v5, v1, vcc
	v_cmp_eq_u32_e32 vcc, s11, v15
	v_lshrrev_b32_e32 v14, 16, v14
	v_cndmask_b32_e32 v5, v13, v10, vcc
	v_and_or_b32 v1, v9, s14, v1
	v_and_or_b32 v5, v14, s14, v5
	v_and_b32_e32 v1, 0xffff, v1
	v_lshl_or_b32 v1, v5, 16, v1
	global_store_dword v[11:12], v1, off
	global_load_dword v1, v[40:41], off offset:1656
	v_lshrrev_b32_e32 v5, 16, v8
	v_add_co_u32_e32 v11, vcc, s6, v11
	v_addc_co_u32_e32 v12, vcc, v12, v0, vcc
	s_waitcnt vmcnt(0)
	v_mul_f16_sdwa v7, v5, v1 dst_sel:DWORD dst_unused:UNUSED_PAD src0_sel:DWORD src1_sel:WORD_1
	v_fma_f16 v7, v8, v1, v7
	v_mul_f16_sdwa v8, v8, v1 dst_sel:DWORD dst_unused:UNUSED_PAD src0_sel:DWORD src1_sel:WORD_1
	v_cvt_f32_f16_e32 v7, v7
	v_fma_f16 v1, v1, v5, -v8
	v_cvt_f32_f16_e32 v1, v1
	v_cvt_f64_f32_e32 v[7:8], v7
	v_cvt_f64_f32_e32 v[9:10], v1
	v_mul_f64 v[7:8], v[7:8], s[12:13]
	v_mul_f64 v[9:10], v[9:10], s[12:13]
	v_and_or_b32 v1, v8, s15, v7
	v_cmp_ne_u32_e32 vcc, 0, v1
	v_and_or_b32 v9, v10, s15, v9
	v_lshrrev_b32_e32 v5, 8, v8
	v_bfe_u32 v7, v8, 20, 11
	v_cndmask_b32_e64 v1, 0, 1, vcc
	v_cmp_ne_u32_e32 vcc, 0, v9
	v_lshrrev_b32_e32 v13, 8, v10
	v_bfe_u32 v14, v10, 20, 11
	v_sub_u32_e32 v15, 0x3f1, v7
	v_cndmask_b32_e64 v9, 0, 1, vcc
	v_and_or_b32 v1, v5, s10, v1
	v_sub_u32_e32 v16, 0x3f1, v14
	v_med3_i32 v5, v15, 0, 13
	v_and_or_b32 v9, v13, s10, v9
	v_or_b32_e32 v15, 0x1000, v1
	v_add_u32_e32 v7, 0xfffffc10, v7
	v_med3_i32 v13, v16, 0, 13
	v_cmp_ne_u32_e32 vcc, 0, v1
	v_or_b32_e32 v17, 0x1000, v9
	v_lshrrev_b32_e32 v19, v5, v15
	v_add_u32_e32 v14, 0xfffffc10, v14
	v_lshl_or_b32 v16, v7, 12, v1
	v_cndmask_b32_e64 v1, 0, 1, vcc
	v_cmp_ne_u32_e32 vcc, 0, v9
	v_lshrrev_b32_e32 v20, v13, v17
	v_lshlrev_b32_e32 v5, v5, v19
	v_lshl_or_b32 v18, v14, 12, v9
	v_cndmask_b32_e64 v9, 0, 1, vcc
	v_lshlrev_b32_e32 v13, v13, v20
	v_cmp_ne_u32_e32 vcc, v5, v15
	v_cndmask_b32_e64 v5, 0, 1, vcc
	v_cmp_ne_u32_e32 vcc, v13, v17
	v_cndmask_b32_e64 v13, 0, 1, vcc
	v_or_b32_e32 v5, v19, v5
	v_cmp_gt_i32_e32 vcc, 1, v7
	v_cndmask_b32_e32 v5, v16, v5, vcc
	v_or_b32_e32 v13, v20, v13
	v_cmp_gt_i32_e32 vcc, 1, v14
	v_and_b32_e32 v15, 7, v5
	v_cndmask_b32_e32 v13, v18, v13, vcc
	v_cmp_lt_i32_e32 vcc, 5, v15
	v_cmp_eq_u32_e64 s[0:1], 3, v15
	v_lshrrev_b32_e32 v5, 2, v5
	v_and_b32_e32 v16, 7, v13
	s_or_b64 vcc, s[0:1], vcc
	v_cmp_lt_i32_e64 s[2:3], 5, v16
	v_cmp_eq_u32_e64 s[4:5], 3, v16
	v_addc_co_u32_e32 v5, vcc, 0, v5, vcc
	v_lshrrev_b32_e32 v13, 2, v13
	s_or_b64 vcc, s[4:5], s[2:3]
	v_addc_co_u32_e32 v13, vcc, 0, v13, vcc
	v_cmp_gt_i32_e32 vcc, 31, v7
	v_cndmask_b32_e32 v5, v3, v5, vcc
	v_cmp_gt_i32_e32 vcc, 31, v14
	v_lshl_or_b32 v1, v1, 9, v3
	v_cndmask_b32_e32 v13, v3, v13, vcc
	v_cmp_eq_u32_e32 vcc, s11, v7
	v_lshrrev_b32_e32 v8, 16, v8
	v_lshl_or_b32 v9, v9, 9, v3
	v_cndmask_b32_e32 v1, v5, v1, vcc
	v_cmp_eq_u32_e32 vcc, s11, v14
	v_lshrrev_b32_e32 v10, 16, v10
	v_cndmask_b32_e32 v5, v13, v9, vcc
	v_and_or_b32 v1, v8, s14, v1
	v_and_or_b32 v5, v10, s14, v5
	v_and_b32_e32 v1, 0xffff, v1
	v_lshl_or_b32 v1, v5, 16, v1
	global_store_dword v[11:12], v1, off
	global_load_dword v1, v[40:41], off offset:1956
	ds_read2_b32 v[5:6], v6 offset0:105 offset1:180
	v_add_co_u32_e32 v11, vcc, s6, v11
	v_addc_co_u32_e32 v12, vcc, v12, v0, vcc
	s_waitcnt lgkmcnt(0)
	v_lshrrev_b32_e32 v7, 16, v5
	s_waitcnt vmcnt(0)
	v_mul_f16_sdwa v8, v7, v1 dst_sel:DWORD dst_unused:UNUSED_PAD src0_sel:DWORD src1_sel:WORD_1
	v_fma_f16 v8, v5, v1, v8
	v_mul_f16_sdwa v5, v5, v1 dst_sel:DWORD dst_unused:UNUSED_PAD src0_sel:DWORD src1_sel:WORD_1
	v_cvt_f32_f16_e32 v8, v8
	v_fma_f16 v1, v1, v7, -v5
	v_cvt_f32_f16_e32 v1, v1
	v_cvt_f64_f32_e32 v[7:8], v8
	v_cvt_f64_f32_e32 v[9:10], v1
	v_mul_f64 v[7:8], v[7:8], s[12:13]
	v_mul_f64 v[9:10], v[9:10], s[12:13]
	v_and_or_b32 v1, v8, s15, v7
	v_cmp_ne_u32_e32 vcc, 0, v1
	v_and_or_b32 v9, v10, s15, v9
	v_lshrrev_b32_e32 v5, 8, v8
	v_bfe_u32 v7, v8, 20, 11
	v_cndmask_b32_e64 v1, 0, 1, vcc
	v_cmp_ne_u32_e32 vcc, 0, v9
	v_lshrrev_b32_e32 v13, 8, v10
	v_bfe_u32 v14, v10, 20, 11
	v_sub_u32_e32 v15, 0x3f1, v7
	v_cndmask_b32_e64 v9, 0, 1, vcc
	v_and_or_b32 v1, v5, s10, v1
	v_sub_u32_e32 v16, 0x3f1, v14
	v_med3_i32 v5, v15, 0, 13
	v_and_or_b32 v9, v13, s10, v9
	v_or_b32_e32 v15, 0x1000, v1
	v_add_u32_e32 v7, 0xfffffc10, v7
	v_med3_i32 v13, v16, 0, 13
	v_cmp_ne_u32_e32 vcc, 0, v1
	v_or_b32_e32 v17, 0x1000, v9
	v_lshrrev_b32_e32 v19, v5, v15
	v_add_u32_e32 v14, 0xfffffc10, v14
	v_lshl_or_b32 v16, v7, 12, v1
	v_cndmask_b32_e64 v1, 0, 1, vcc
	v_cmp_ne_u32_e32 vcc, 0, v9
	v_lshrrev_b32_e32 v20, v13, v17
	v_lshlrev_b32_e32 v5, v5, v19
	v_lshl_or_b32 v18, v14, 12, v9
	v_cndmask_b32_e64 v9, 0, 1, vcc
	v_lshlrev_b32_e32 v13, v13, v20
	v_cmp_ne_u32_e32 vcc, v5, v15
	v_cndmask_b32_e64 v5, 0, 1, vcc
	v_cmp_ne_u32_e32 vcc, v13, v17
	v_cndmask_b32_e64 v13, 0, 1, vcc
	v_or_b32_e32 v5, v19, v5
	v_cmp_gt_i32_e32 vcc, 1, v7
	v_cndmask_b32_e32 v5, v16, v5, vcc
	v_or_b32_e32 v13, v20, v13
	v_cmp_gt_i32_e32 vcc, 1, v14
	v_and_b32_e32 v15, 7, v5
	v_cndmask_b32_e32 v13, v18, v13, vcc
	v_cmp_lt_i32_e32 vcc, 5, v15
	v_cmp_eq_u32_e64 s[0:1], 3, v15
	v_lshrrev_b32_e32 v5, 2, v5
	v_and_b32_e32 v16, 7, v13
	s_or_b64 vcc, s[0:1], vcc
	v_cmp_lt_i32_e64 s[2:3], 5, v16
	v_cmp_eq_u32_e64 s[4:5], 3, v16
	v_addc_co_u32_e32 v5, vcc, 0, v5, vcc
	v_lshrrev_b32_e32 v13, 2, v13
	s_or_b64 vcc, s[4:5], s[2:3]
	v_addc_co_u32_e32 v13, vcc, 0, v13, vcc
	v_cmp_gt_i32_e32 vcc, 31, v7
	v_cndmask_b32_e32 v5, v3, v5, vcc
	v_cmp_gt_i32_e32 vcc, 31, v14
	v_lshl_or_b32 v1, v1, 9, v3
	v_cndmask_b32_e32 v13, v3, v13, vcc
	v_cmp_eq_u32_e32 vcc, s11, v7
	v_lshrrev_b32_e32 v8, 16, v8
	v_lshl_or_b32 v9, v9, 9, v3
	v_cndmask_b32_e32 v1, v5, v1, vcc
	v_cmp_eq_u32_e32 vcc, s11, v14
	v_lshrrev_b32_e32 v10, 16, v10
	v_cndmask_b32_e32 v5, v13, v9, vcc
	v_and_or_b32 v1, v8, s14, v1
	v_and_or_b32 v5, v10, s14, v5
	v_and_b32_e32 v1, 0xffff, v1
	v_lshl_or_b32 v1, v5, 16, v1
	global_store_dword v[11:12], v1, off
	global_load_dword v1, v[40:41], off offset:2256
	v_lshrrev_b32_e32 v5, 16, v6
	v_add_co_u32_e32 v9, vcc, s6, v11
	v_addc_co_u32_e32 v10, vcc, v12, v0, vcc
	s_waitcnt vmcnt(0)
	v_mul_f16_sdwa v7, v5, v1 dst_sel:DWORD dst_unused:UNUSED_PAD src0_sel:DWORD src1_sel:WORD_1
	v_fma_f16 v7, v6, v1, v7
	v_mul_f16_sdwa v6, v6, v1 dst_sel:DWORD dst_unused:UNUSED_PAD src0_sel:DWORD src1_sel:WORD_1
	v_cvt_f32_f16_e32 v7, v7
	v_fma_f16 v1, v1, v5, -v6
	v_cvt_f32_f16_e32 v1, v1
	v_cvt_f64_f32_e32 v[5:6], v7
	v_cvt_f64_f32_e32 v[7:8], v1
	v_mul_f64 v[5:6], v[5:6], s[12:13]
	v_mul_f64 v[7:8], v[7:8], s[12:13]
	v_and_or_b32 v1, v6, s15, v5
	v_cmp_ne_u32_e32 vcc, 0, v1
	v_and_or_b32 v7, v8, s15, v7
	v_lshrrev_b32_e32 v5, 8, v6
	v_bfe_u32 v11, v6, 20, 11
	v_cndmask_b32_e64 v1, 0, 1, vcc
	v_cmp_ne_u32_e32 vcc, 0, v7
	v_lshrrev_b32_e32 v12, 8, v8
	v_bfe_u32 v13, v8, 20, 11
	v_sub_u32_e32 v14, 0x3f1, v11
	v_cndmask_b32_e64 v7, 0, 1, vcc
	v_and_or_b32 v1, v5, s10, v1
	v_sub_u32_e32 v15, 0x3f1, v13
	v_med3_i32 v5, v14, 0, 13
	v_and_or_b32 v7, v12, s10, v7
	v_or_b32_e32 v14, 0x1000, v1
	v_add_u32_e32 v11, 0xfffffc10, v11
	v_med3_i32 v12, v15, 0, 13
	v_cmp_ne_u32_e32 vcc, 0, v1
	v_or_b32_e32 v16, 0x1000, v7
	v_lshrrev_b32_e32 v18, v5, v14
	v_add_u32_e32 v13, 0xfffffc10, v13
	v_lshl_or_b32 v15, v11, 12, v1
	v_cndmask_b32_e64 v1, 0, 1, vcc
	v_cmp_ne_u32_e32 vcc, 0, v7
	v_lshrrev_b32_e32 v19, v12, v16
	v_lshlrev_b32_e32 v5, v5, v18
	v_lshl_or_b32 v17, v13, 12, v7
	v_cndmask_b32_e64 v7, 0, 1, vcc
	v_lshlrev_b32_e32 v12, v12, v19
	v_cmp_ne_u32_e32 vcc, v5, v14
	v_cndmask_b32_e64 v5, 0, 1, vcc
	v_cmp_ne_u32_e32 vcc, v12, v16
	v_cndmask_b32_e64 v12, 0, 1, vcc
	v_or_b32_e32 v5, v18, v5
	v_cmp_gt_i32_e32 vcc, 1, v11
	v_cndmask_b32_e32 v5, v15, v5, vcc
	v_or_b32_e32 v12, v19, v12
	v_cmp_gt_i32_e32 vcc, 1, v13
	v_and_b32_e32 v14, 7, v5
	v_cndmask_b32_e32 v12, v17, v12, vcc
	v_cmp_lt_i32_e32 vcc, 5, v14
	v_cmp_eq_u32_e64 s[0:1], 3, v14
	v_lshrrev_b32_e32 v5, 2, v5
	v_and_b32_e32 v15, 7, v12
	s_or_b64 vcc, s[0:1], vcc
	v_cmp_lt_i32_e64 s[2:3], 5, v15
	v_cmp_eq_u32_e64 s[4:5], 3, v15
	v_addc_co_u32_e32 v5, vcc, 0, v5, vcc
	v_lshrrev_b32_e32 v12, 2, v12
	s_or_b64 vcc, s[4:5], s[2:3]
	v_addc_co_u32_e32 v12, vcc, 0, v12, vcc
	v_cmp_gt_i32_e32 vcc, 31, v11
	v_cndmask_b32_e32 v5, v3, v5, vcc
	v_cmp_gt_i32_e32 vcc, 31, v13
	v_lshl_or_b32 v1, v1, 9, v3
	v_cndmask_b32_e32 v12, v3, v12, vcc
	v_cmp_eq_u32_e32 vcc, s11, v11
	v_lshrrev_b32_e32 v6, 16, v6
	v_lshl_or_b32 v7, v7, 9, v3
	v_cndmask_b32_e32 v1, v5, v1, vcc
	v_cmp_eq_u32_e32 vcc, s11, v13
	v_lshrrev_b32_e32 v8, 16, v8
	v_cndmask_b32_e32 v5, v12, v7, vcc
	v_and_or_b32 v1, v6, s14, v1
	v_and_or_b32 v5, v8, s14, v5
	v_and_b32_e32 v1, 0xffff, v1
	v_lshl_or_b32 v1, v5, 16, v1
	global_store_dword v[9:10], v1, off
	global_load_dword v1, v[40:41], off offset:2556
	ds_read2_b32 v[4:5], v4 offset0:127 offset1:202
	v_add_co_u32_e32 v8, vcc, s6, v9
	v_addc_co_u32_e32 v9, vcc, v10, v0, vcc
	s_waitcnt lgkmcnt(0)
	v_lshrrev_b32_e32 v6, 16, v4
	s_waitcnt vmcnt(0)
	v_mul_f16_sdwa v7, v6, v1 dst_sel:DWORD dst_unused:UNUSED_PAD src0_sel:DWORD src1_sel:WORD_1
	v_fma_f16 v7, v4, v1, v7
	v_mul_f16_sdwa v4, v4, v1 dst_sel:DWORD dst_unused:UNUSED_PAD src0_sel:DWORD src1_sel:WORD_1
	v_cvt_f32_f16_e32 v7, v7
	v_fma_f16 v1, v1, v6, -v4
	v_cvt_f32_f16_e32 v1, v1
	v_cvt_f64_f32_e32 v[6:7], v7
	v_cvt_f64_f32_e32 v[11:12], v1
	v_mul_f64 v[6:7], v[6:7], s[12:13]
	v_mul_f64 v[11:12], v[11:12], s[12:13]
	v_and_or_b32 v1, v7, s15, v6
	v_cmp_ne_u32_e32 vcc, 0, v1
	v_and_or_b32 v10, v12, s15, v11
	v_lshrrev_b32_e32 v4, 8, v7
	v_bfe_u32 v6, v7, 20, 11
	v_cndmask_b32_e64 v1, 0, 1, vcc
	v_cmp_ne_u32_e32 vcc, 0, v10
	v_lshrrev_b32_e32 v11, 8, v12
	v_bfe_u32 v13, v12, 20, 11
	v_sub_u32_e32 v14, 0x3f1, v6
	v_cndmask_b32_e64 v10, 0, 1, vcc
	v_and_or_b32 v1, v4, s10, v1
	v_sub_u32_e32 v15, 0x3f1, v13
	v_med3_i32 v4, v14, 0, 13
	v_and_or_b32 v10, v11, s10, v10
	v_or_b32_e32 v14, 0x1000, v1
	v_add_u32_e32 v6, 0xfffffc10, v6
	v_med3_i32 v11, v15, 0, 13
	v_cmp_ne_u32_e32 vcc, 0, v1
	v_or_b32_e32 v16, 0x1000, v10
	v_lshrrev_b32_e32 v18, v4, v14
	v_add_u32_e32 v13, 0xfffffc10, v13
	v_lshl_or_b32 v15, v6, 12, v1
	v_cndmask_b32_e64 v1, 0, 1, vcc
	v_cmp_ne_u32_e32 vcc, 0, v10
	v_lshrrev_b32_e32 v19, v11, v16
	v_lshlrev_b32_e32 v4, v4, v18
	v_lshl_or_b32 v17, v13, 12, v10
	v_cndmask_b32_e64 v10, 0, 1, vcc
	v_lshlrev_b32_e32 v11, v11, v19
	v_cmp_ne_u32_e32 vcc, v4, v14
	v_cndmask_b32_e64 v4, 0, 1, vcc
	v_cmp_ne_u32_e32 vcc, v11, v16
	v_cndmask_b32_e64 v11, 0, 1, vcc
	v_or_b32_e32 v4, v18, v4
	v_cmp_gt_i32_e32 vcc, 1, v6
	v_cndmask_b32_e32 v4, v15, v4, vcc
	v_or_b32_e32 v11, v19, v11
	v_cmp_gt_i32_e32 vcc, 1, v13
	v_and_b32_e32 v14, 7, v4
	v_cndmask_b32_e32 v11, v17, v11, vcc
	v_cmp_lt_i32_e32 vcc, 5, v14
	v_cmp_eq_u32_e64 s[0:1], 3, v14
	v_lshrrev_b32_e32 v4, 2, v4
	v_and_b32_e32 v15, 7, v11
	s_or_b64 vcc, s[0:1], vcc
	v_cmp_lt_i32_e64 s[2:3], 5, v15
	v_cmp_eq_u32_e64 s[4:5], 3, v15
	v_addc_co_u32_e32 v4, vcc, 0, v4, vcc
	v_lshrrev_b32_e32 v11, 2, v11
	s_or_b64 vcc, s[4:5], s[2:3]
	v_addc_co_u32_e32 v11, vcc, 0, v11, vcc
	v_cmp_gt_i32_e32 vcc, 31, v6
	v_cndmask_b32_e32 v4, v3, v4, vcc
	v_cmp_gt_i32_e32 vcc, 31, v13
	v_lshl_or_b32 v1, v1, 9, v3
	v_cndmask_b32_e32 v11, v3, v11, vcc
	v_cmp_eq_u32_e32 vcc, s11, v6
	v_lshrrev_b32_e32 v7, 16, v7
	v_lshl_or_b32 v10, v10, 9, v3
	v_cndmask_b32_e32 v1, v4, v1, vcc
	v_cmp_eq_u32_e32 vcc, s11, v13
	v_lshrrev_b32_e32 v12, 16, v12
	v_cndmask_b32_e32 v4, v11, v10, vcc
	v_and_or_b32 v1, v7, s14, v1
	v_and_or_b32 v4, v12, s14, v4
	v_and_b32_e32 v1, 0xffff, v1
	v_lshl_or_b32 v1, v4, 16, v1
	global_store_dword v[8:9], v1, off
	global_load_dword v1, v[40:41], off offset:2856
	v_lshrrev_b32_e32 v4, 16, v5
	v_add_co_u32_e32 v8, vcc, s6, v8
	v_addc_co_u32_e32 v9, vcc, v9, v0, vcc
	s_waitcnt vmcnt(0)
	v_mul_f16_sdwa v6, v4, v1 dst_sel:DWORD dst_unused:UNUSED_PAD src0_sel:DWORD src1_sel:WORD_1
	v_fma_f16 v6, v5, v1, v6
	v_mul_f16_sdwa v5, v5, v1 dst_sel:DWORD dst_unused:UNUSED_PAD src0_sel:DWORD src1_sel:WORD_1
	v_cvt_f32_f16_e32 v6, v6
	v_fma_f16 v1, v1, v4, -v5
	v_cvt_f32_f16_e32 v1, v1
	v_cvt_f64_f32_e32 v[4:5], v6
	v_cvt_f64_f32_e32 v[6:7], v1
	v_mul_f64 v[4:5], v[4:5], s[12:13]
	v_mul_f64 v[6:7], v[6:7], s[12:13]
	v_and_or_b32 v1, v5, s15, v4
	v_cmp_ne_u32_e32 vcc, 0, v1
	v_and_or_b32 v6, v7, s15, v6
	v_lshrrev_b32_e32 v4, 8, v5
	v_bfe_u32 v10, v5, 20, 11
	v_cndmask_b32_e64 v1, 0, 1, vcc
	v_cmp_ne_u32_e32 vcc, 0, v6
	v_lshrrev_b32_e32 v11, 8, v7
	v_bfe_u32 v12, v7, 20, 11
	v_sub_u32_e32 v13, 0x3f1, v10
	v_cndmask_b32_e64 v6, 0, 1, vcc
	v_and_or_b32 v1, v4, s10, v1
	v_sub_u32_e32 v14, 0x3f1, v12
	v_med3_i32 v4, v13, 0, 13
	v_and_or_b32 v6, v11, s10, v6
	v_or_b32_e32 v13, 0x1000, v1
	v_add_u32_e32 v10, 0xfffffc10, v10
	v_med3_i32 v11, v14, 0, 13
	v_cmp_ne_u32_e32 vcc, 0, v1
	v_or_b32_e32 v15, 0x1000, v6
	v_lshrrev_b32_e32 v17, v4, v13
	v_add_u32_e32 v12, 0xfffffc10, v12
	v_lshl_or_b32 v14, v10, 12, v1
	v_cndmask_b32_e64 v1, 0, 1, vcc
	v_cmp_ne_u32_e32 vcc, 0, v6
	v_lshrrev_b32_e32 v18, v11, v15
	v_lshlrev_b32_e32 v4, v4, v17
	v_lshl_or_b32 v16, v12, 12, v6
	v_cndmask_b32_e64 v6, 0, 1, vcc
	v_lshlrev_b32_e32 v11, v11, v18
	v_cmp_ne_u32_e32 vcc, v4, v13
	v_cndmask_b32_e64 v4, 0, 1, vcc
	v_cmp_ne_u32_e32 vcc, v11, v15
	v_cndmask_b32_e64 v11, 0, 1, vcc
	v_or_b32_e32 v4, v17, v4
	v_cmp_gt_i32_e32 vcc, 1, v10
	v_cndmask_b32_e32 v4, v14, v4, vcc
	v_or_b32_e32 v11, v18, v11
	v_cmp_gt_i32_e32 vcc, 1, v12
	v_and_b32_e32 v13, 7, v4
	v_cndmask_b32_e32 v11, v16, v11, vcc
	v_cmp_lt_i32_e32 vcc, 5, v13
	v_cmp_eq_u32_e64 s[0:1], 3, v13
	v_lshrrev_b32_e32 v4, 2, v4
	v_and_b32_e32 v14, 7, v11
	s_or_b64 vcc, s[0:1], vcc
	v_cmp_lt_i32_e64 s[2:3], 5, v14
	v_cmp_eq_u32_e64 s[4:5], 3, v14
	v_addc_co_u32_e32 v4, vcc, 0, v4, vcc
	v_lshrrev_b32_e32 v11, 2, v11
	s_or_b64 vcc, s[4:5], s[2:3]
	v_addc_co_u32_e32 v11, vcc, 0, v11, vcc
	v_cmp_gt_i32_e32 vcc, 31, v10
	v_cndmask_b32_e32 v4, v3, v4, vcc
	v_cmp_gt_i32_e32 vcc, 31, v12
	v_lshl_or_b32 v1, v1, 9, v3
	v_cndmask_b32_e32 v11, v3, v11, vcc
	v_cmp_eq_u32_e32 vcc, s11, v10
	v_lshrrev_b32_e32 v5, 16, v5
	v_lshl_or_b32 v6, v6, 9, v3
	v_cndmask_b32_e32 v1, v4, v1, vcc
	v_cmp_eq_u32_e32 vcc, s11, v12
	v_lshrrev_b32_e32 v7, 16, v7
	v_cndmask_b32_e32 v4, v11, v6, vcc
	v_and_or_b32 v1, v5, s14, v1
	v_and_or_b32 v4, v7, s14, v4
	v_and_b32_e32 v1, 0xffff, v1
	v_lshl_or_b32 v1, v4, 16, v1
	global_store_dword v[8:9], v1, off
	global_load_dword v4, v[40:41], off offset:3156
	ds_read2_b32 v[1:2], v2 offset0:21 offset1:96
	v_add_co_u32_e32 v8, vcc, s6, v8
	v_addc_co_u32_e32 v9, vcc, v9, v0, vcc
	s_waitcnt lgkmcnt(0)
	v_lshrrev_b32_e32 v5, 16, v1
	s_waitcnt vmcnt(0)
	v_mul_f16_sdwa v6, v5, v4 dst_sel:DWORD dst_unused:UNUSED_PAD src0_sel:DWORD src1_sel:WORD_1
	v_fma_f16 v6, v1, v4, v6
	v_mul_f16_sdwa v1, v1, v4 dst_sel:DWORD dst_unused:UNUSED_PAD src0_sel:DWORD src1_sel:WORD_1
	v_cvt_f32_f16_e32 v6, v6
	v_fma_f16 v1, v4, v5, -v1
	v_cvt_f32_f16_e32 v1, v1
	v_cvt_f64_f32_e32 v[4:5], v6
	v_cvt_f64_f32_e32 v[6:7], v1
	v_mul_f64 v[4:5], v[4:5], s[12:13]
	v_mul_f64 v[6:7], v[6:7], s[12:13]
	v_and_or_b32 v1, v5, s15, v4
	v_cmp_ne_u32_e32 vcc, 0, v1
	v_and_or_b32 v6, v7, s15, v6
	v_lshrrev_b32_e32 v4, 8, v5
	v_bfe_u32 v10, v5, 20, 11
	v_cndmask_b32_e64 v1, 0, 1, vcc
	v_cmp_ne_u32_e32 vcc, 0, v6
	v_lshrrev_b32_e32 v11, 8, v7
	v_bfe_u32 v12, v7, 20, 11
	v_sub_u32_e32 v13, 0x3f1, v10
	v_cndmask_b32_e64 v6, 0, 1, vcc
	v_and_or_b32 v1, v4, s10, v1
	v_sub_u32_e32 v14, 0x3f1, v12
	v_med3_i32 v4, v13, 0, 13
	v_and_or_b32 v6, v11, s10, v6
	v_or_b32_e32 v13, 0x1000, v1
	v_add_u32_e32 v10, 0xfffffc10, v10
	v_med3_i32 v11, v14, 0, 13
	v_cmp_ne_u32_e32 vcc, 0, v1
	v_or_b32_e32 v15, 0x1000, v6
	v_lshrrev_b32_e32 v17, v4, v13
	v_add_u32_e32 v12, 0xfffffc10, v12
	v_lshl_or_b32 v14, v10, 12, v1
	v_cndmask_b32_e64 v1, 0, 1, vcc
	v_cmp_ne_u32_e32 vcc, 0, v6
	v_lshrrev_b32_e32 v18, v11, v15
	v_lshlrev_b32_e32 v4, v4, v17
	v_lshl_or_b32 v16, v12, 12, v6
	v_cndmask_b32_e64 v6, 0, 1, vcc
	v_lshlrev_b32_e32 v11, v11, v18
	v_cmp_ne_u32_e32 vcc, v4, v13
	v_cndmask_b32_e64 v4, 0, 1, vcc
	v_cmp_ne_u32_e32 vcc, v11, v15
	v_cndmask_b32_e64 v11, 0, 1, vcc
	v_or_b32_e32 v4, v17, v4
	v_cmp_gt_i32_e32 vcc, 1, v10
	v_cndmask_b32_e32 v4, v14, v4, vcc
	v_or_b32_e32 v11, v18, v11
	v_cmp_gt_i32_e32 vcc, 1, v12
	v_and_b32_e32 v13, 7, v4
	v_cndmask_b32_e32 v11, v16, v11, vcc
	v_cmp_lt_i32_e32 vcc, 5, v13
	v_cmp_eq_u32_e64 s[0:1], 3, v13
	v_lshrrev_b32_e32 v4, 2, v4
	v_and_b32_e32 v14, 7, v11
	s_or_b64 vcc, s[0:1], vcc
	v_cmp_lt_i32_e64 s[2:3], 5, v14
	v_cmp_eq_u32_e64 s[4:5], 3, v14
	v_addc_co_u32_e32 v4, vcc, 0, v4, vcc
	v_lshrrev_b32_e32 v11, 2, v11
	s_or_b64 vcc, s[4:5], s[2:3]
	v_addc_co_u32_e32 v11, vcc, 0, v11, vcc
	v_cmp_gt_i32_e32 vcc, 31, v10
	v_cndmask_b32_e32 v4, v3, v4, vcc
	v_cmp_gt_i32_e32 vcc, 31, v12
	v_lshl_or_b32 v1, v1, 9, v3
	v_cndmask_b32_e32 v11, v3, v11, vcc
	v_cmp_eq_u32_e32 vcc, s11, v10
	v_lshrrev_b32_e32 v5, 16, v5
	v_lshl_or_b32 v6, v6, 9, v3
	v_cndmask_b32_e32 v1, v4, v1, vcc
	v_cmp_eq_u32_e32 vcc, s11, v12
	v_lshrrev_b32_e32 v7, 16, v7
	v_cndmask_b32_e32 v4, v11, v6, vcc
	v_and_or_b32 v1, v5, s14, v1
	v_and_or_b32 v4, v7, s14, v4
	v_and_b32_e32 v1, 0xffff, v1
	v_lshl_or_b32 v1, v4, 16, v1
	global_store_dword v[8:9], v1, off
	global_load_dword v1, v[40:41], off offset:3456
	v_lshrrev_b32_e32 v4, 16, v2
	v_add_co_u32_e32 v6, vcc, s6, v8
	v_addc_co_u32_e32 v7, vcc, v9, v0, vcc
	s_waitcnt vmcnt(0)
	v_mul_f16_sdwa v5, v4, v1 dst_sel:DWORD dst_unused:UNUSED_PAD src0_sel:DWORD src1_sel:WORD_1
	v_fma_f16 v5, v2, v1, v5
	v_mul_f16_sdwa v2, v2, v1 dst_sel:DWORD dst_unused:UNUSED_PAD src0_sel:DWORD src1_sel:WORD_1
	v_cvt_f32_f16_e32 v5, v5
	v_fma_f16 v1, v1, v4, -v2
	v_cvt_f32_f16_e32 v4, v1
	v_cvt_f64_f32_e32 v[1:2], v5
	v_cvt_f64_f32_e32 v[4:5], v4
	v_mul_f64 v[1:2], v[1:2], s[12:13]
	v_mul_f64 v[4:5], v[4:5], s[12:13]
	v_and_or_b32 v1, v2, s15, v1
	v_cmp_ne_u32_e32 vcc, 0, v1
	v_and_or_b32 v4, v5, s15, v4
	v_lshrrev_b32_e32 v8, 8, v2
	v_bfe_u32 v9, v2, 20, 11
	v_cndmask_b32_e64 v1, 0, 1, vcc
	v_cmp_ne_u32_e32 vcc, 0, v4
	v_lshrrev_b32_e32 v10, 8, v5
	v_bfe_u32 v11, v5, 20, 11
	v_sub_u32_e32 v12, 0x3f1, v9
	v_cndmask_b32_e64 v4, 0, 1, vcc
	v_and_or_b32 v1, v8, s10, v1
	v_sub_u32_e32 v13, 0x3f1, v11
	v_med3_i32 v8, v12, 0, 13
	v_and_or_b32 v4, v10, s10, v4
	v_or_b32_e32 v12, 0x1000, v1
	v_add_u32_e32 v9, 0xfffffc10, v9
	v_med3_i32 v10, v13, 0, 13
	v_cmp_ne_u32_e32 vcc, 0, v1
	v_or_b32_e32 v14, 0x1000, v4
	v_lshrrev_b32_e32 v16, v8, v12
	v_add_u32_e32 v11, 0xfffffc10, v11
	v_lshl_or_b32 v13, v9, 12, v1
	v_cndmask_b32_e64 v1, 0, 1, vcc
	v_cmp_ne_u32_e32 vcc, 0, v4
	v_lshrrev_b32_e32 v17, v10, v14
	v_lshlrev_b32_e32 v8, v8, v16
	v_lshl_or_b32 v15, v11, 12, v4
	v_cndmask_b32_e64 v4, 0, 1, vcc
	v_lshlrev_b32_e32 v10, v10, v17
	v_cmp_ne_u32_e32 vcc, v8, v12
	v_cndmask_b32_e64 v8, 0, 1, vcc
	v_cmp_ne_u32_e32 vcc, v10, v14
	v_cndmask_b32_e64 v10, 0, 1, vcc
	v_or_b32_e32 v8, v16, v8
	v_cmp_gt_i32_e32 vcc, 1, v9
	v_cndmask_b32_e32 v8, v13, v8, vcc
	v_or_b32_e32 v10, v17, v10
	v_cmp_gt_i32_e32 vcc, 1, v11
	v_and_b32_e32 v12, 7, v8
	v_cndmask_b32_e32 v10, v15, v10, vcc
	v_cmp_lt_i32_e32 vcc, 5, v12
	v_cmp_eq_u32_e64 s[0:1], 3, v12
	v_lshrrev_b32_e32 v8, 2, v8
	v_and_b32_e32 v13, 7, v10
	s_or_b64 vcc, s[0:1], vcc
	v_cmp_lt_i32_e64 s[2:3], 5, v13
	v_cmp_eq_u32_e64 s[4:5], 3, v13
	v_addc_co_u32_e32 v8, vcc, 0, v8, vcc
	v_lshrrev_b32_e32 v10, 2, v10
	s_or_b64 vcc, s[4:5], s[2:3]
	v_addc_co_u32_e32 v10, vcc, 0, v10, vcc
	v_cmp_gt_i32_e32 vcc, 31, v9
	v_cndmask_b32_e32 v8, v3, v8, vcc
	v_cmp_gt_i32_e32 vcc, 31, v11
	v_lshl_or_b32 v1, v1, 9, v3
	v_cndmask_b32_e32 v10, v3, v10, vcc
	v_cmp_eq_u32_e32 vcc, s11, v9
	v_lshrrev_b32_e32 v2, 16, v2
	v_lshl_or_b32 v4, v4, 9, v3
	v_cndmask_b32_e32 v1, v8, v1, vcc
	v_cmp_eq_u32_e32 vcc, s11, v11
	v_lshrrev_b32_e32 v5, 16, v5
	v_cndmask_b32_e32 v4, v10, v4, vcc
	v_and_or_b32 v1, v2, s14, v1
	v_and_or_b32 v2, v5, s14, v4
	v_and_b32_e32 v1, 0xffff, v1
	v_lshl_or_b32 v1, v2, 16, v1
	global_store_dword v[6:7], v1, off
	global_load_dword v1, v[40:41], off offset:3756
	ds_read_b32 v2, v87 offset:3756
	s_waitcnt lgkmcnt(0)
	v_lshrrev_b32_e32 v4, 16, v2
	s_waitcnt vmcnt(0)
	v_mul_f16_sdwa v5, v4, v1 dst_sel:DWORD dst_unused:UNUSED_PAD src0_sel:DWORD src1_sel:WORD_1
	v_fma_f16 v5, v2, v1, v5
	v_mul_f16_sdwa v2, v2, v1 dst_sel:DWORD dst_unused:UNUSED_PAD src0_sel:DWORD src1_sel:WORD_1
	v_cvt_f32_f16_e32 v5, v5
	v_fma_f16 v1, v1, v4, -v2
	v_cvt_f32_f16_e32 v4, v1
	v_cvt_f64_f32_e32 v[1:2], v5
	v_cvt_f64_f32_e32 v[4:5], v4
	v_mul_f64 v[1:2], v[1:2], s[12:13]
	v_mul_f64 v[4:5], v[4:5], s[12:13]
	v_and_or_b32 v1, v2, s15, v1
	v_cmp_ne_u32_e32 vcc, 0, v1
	v_and_or_b32 v4, v5, s15, v4
	v_lshrrev_b32_e32 v8, 8, v2
	v_bfe_u32 v9, v2, 20, 11
	v_cndmask_b32_e64 v1, 0, 1, vcc
	v_cmp_ne_u32_e32 vcc, 0, v4
	v_lshrrev_b32_e32 v10, 8, v5
	v_bfe_u32 v11, v5, 20, 11
	v_sub_u32_e32 v12, 0x3f1, v9
	v_cndmask_b32_e64 v4, 0, 1, vcc
	v_and_or_b32 v1, v8, s10, v1
	v_sub_u32_e32 v13, 0x3f1, v11
	v_med3_i32 v8, v12, 0, 13
	v_and_or_b32 v4, v10, s10, v4
	v_or_b32_e32 v12, 0x1000, v1
	v_add_u32_e32 v9, 0xfffffc10, v9
	v_med3_i32 v10, v13, 0, 13
	v_cmp_ne_u32_e32 vcc, 0, v1
	v_or_b32_e32 v14, 0x1000, v4
	v_lshrrev_b32_e32 v16, v8, v12
	v_add_u32_e32 v11, 0xfffffc10, v11
	v_lshl_or_b32 v13, v9, 12, v1
	v_cndmask_b32_e64 v1, 0, 1, vcc
	v_cmp_ne_u32_e32 vcc, 0, v4
	v_lshrrev_b32_e32 v17, v10, v14
	v_lshlrev_b32_e32 v8, v8, v16
	v_lshl_or_b32 v15, v11, 12, v4
	v_cndmask_b32_e64 v4, 0, 1, vcc
	v_lshlrev_b32_e32 v10, v10, v17
	v_cmp_ne_u32_e32 vcc, v8, v12
	v_cndmask_b32_e64 v8, 0, 1, vcc
	v_cmp_ne_u32_e32 vcc, v10, v14
	v_cndmask_b32_e64 v10, 0, 1, vcc
	v_or_b32_e32 v8, v16, v8
	v_cmp_gt_i32_e32 vcc, 1, v9
	v_cndmask_b32_e32 v8, v13, v8, vcc
	v_or_b32_e32 v10, v17, v10
	v_cmp_gt_i32_e32 vcc, 1, v11
	v_and_b32_e32 v12, 7, v8
	v_cndmask_b32_e32 v10, v15, v10, vcc
	v_cmp_lt_i32_e32 vcc, 5, v12
	v_cmp_eq_u32_e64 s[0:1], 3, v12
	v_lshrrev_b32_e32 v8, 2, v8
	v_and_b32_e32 v13, 7, v10
	s_or_b64 vcc, s[0:1], vcc
	v_cmp_lt_i32_e64 s[2:3], 5, v13
	v_cmp_eq_u32_e64 s[4:5], 3, v13
	v_addc_co_u32_e32 v8, vcc, 0, v8, vcc
	v_lshrrev_b32_e32 v10, 2, v10
	s_or_b64 vcc, s[4:5], s[2:3]
	v_addc_co_u32_e32 v10, vcc, 0, v10, vcc
	v_cmp_gt_i32_e32 vcc, 31, v9
	v_cndmask_b32_e32 v8, v3, v8, vcc
	v_cmp_gt_i32_e32 vcc, 31, v11
	v_lshl_or_b32 v1, v1, 9, v3
	v_lshl_or_b32 v4, v4, 9, v3
	v_cndmask_b32_e32 v3, v3, v10, vcc
	v_cmp_eq_u32_e32 vcc, s11, v9
	v_lshrrev_b32_e32 v2, 16, v2
	v_cndmask_b32_e32 v1, v8, v1, vcc
	v_cmp_eq_u32_e32 vcc, s11, v11
	v_lshrrev_b32_e32 v5, 16, v5
	v_cndmask_b32_e32 v3, v3, v4, vcc
	v_and_or_b32 v1, v2, s14, v1
	v_and_or_b32 v2, v5, s14, v3
	v_and_b32_e32 v1, 0xffff, v1
	v_lshl_or_b32 v3, v2, 16, v1
	v_add_co_u32_e32 v1, vcc, s6, v6
	v_addc_co_u32_e32 v2, vcc, v7, v0, vcc
	global_store_dword v[1:2], v3, off
.LBB0_23:
	s_endpgm
	.section	.rodata,"a",@progbits
	.p2align	6, 0x0
	.amdhsa_kernel bluestein_single_back_len975_dim1_half_op_CI_CI
		.amdhsa_group_segment_fixed_size 11700
		.amdhsa_private_segment_fixed_size 0
		.amdhsa_kernarg_size 104
		.amdhsa_user_sgpr_count 6
		.amdhsa_user_sgpr_private_segment_buffer 1
		.amdhsa_user_sgpr_dispatch_ptr 0
		.amdhsa_user_sgpr_queue_ptr 0
		.amdhsa_user_sgpr_kernarg_segment_ptr 1
		.amdhsa_user_sgpr_dispatch_id 0
		.amdhsa_user_sgpr_flat_scratch_init 0
		.amdhsa_user_sgpr_private_segment_size 0
		.amdhsa_uses_dynamic_stack 0
		.amdhsa_system_sgpr_private_segment_wavefront_offset 0
		.amdhsa_system_sgpr_workgroup_id_x 1
		.amdhsa_system_sgpr_workgroup_id_y 0
		.amdhsa_system_sgpr_workgroup_id_z 0
		.amdhsa_system_sgpr_workgroup_info 0
		.amdhsa_system_vgpr_workitem_id 0
		.amdhsa_next_free_vgpr 228
		.amdhsa_next_free_sgpr 36
		.amdhsa_reserve_vcc 1
		.amdhsa_reserve_flat_scratch 0
		.amdhsa_float_round_mode_32 0
		.amdhsa_float_round_mode_16_64 0
		.amdhsa_float_denorm_mode_32 3
		.amdhsa_float_denorm_mode_16_64 3
		.amdhsa_dx10_clamp 1
		.amdhsa_ieee_mode 1
		.amdhsa_fp16_overflow 0
		.amdhsa_exception_fp_ieee_invalid_op 0
		.amdhsa_exception_fp_denorm_src 0
		.amdhsa_exception_fp_ieee_div_zero 0
		.amdhsa_exception_fp_ieee_overflow 0
		.amdhsa_exception_fp_ieee_underflow 0
		.amdhsa_exception_fp_ieee_inexact 0
		.amdhsa_exception_int_div_zero 0
	.end_amdhsa_kernel
	.text
.Lfunc_end0:
	.size	bluestein_single_back_len975_dim1_half_op_CI_CI, .Lfunc_end0-bluestein_single_back_len975_dim1_half_op_CI_CI
                                        ; -- End function
	.section	.AMDGPU.csdata,"",@progbits
; Kernel info:
; codeLenInByte = 45596
; NumSgprs: 40
; NumVgprs: 228
; ScratchSize: 0
; MemoryBound: 0
; FloatMode: 240
; IeeeMode: 1
; LDSByteSize: 11700 bytes/workgroup (compile time only)
; SGPRBlocks: 4
; VGPRBlocks: 56
; NumSGPRsForWavesPerEU: 40
; NumVGPRsForWavesPerEU: 228
; Occupancy: 1
; WaveLimiterHint : 1
; COMPUTE_PGM_RSRC2:SCRATCH_EN: 0
; COMPUTE_PGM_RSRC2:USER_SGPR: 6
; COMPUTE_PGM_RSRC2:TRAP_HANDLER: 0
; COMPUTE_PGM_RSRC2:TGID_X_EN: 1
; COMPUTE_PGM_RSRC2:TGID_Y_EN: 0
; COMPUTE_PGM_RSRC2:TGID_Z_EN: 0
; COMPUTE_PGM_RSRC2:TIDIG_COMP_CNT: 0
	.type	__hip_cuid_59ac2b887ebef67e,@object ; @__hip_cuid_59ac2b887ebef67e
	.section	.bss,"aw",@nobits
	.globl	__hip_cuid_59ac2b887ebef67e
__hip_cuid_59ac2b887ebef67e:
	.byte	0                               ; 0x0
	.size	__hip_cuid_59ac2b887ebef67e, 1

	.ident	"AMD clang version 19.0.0git (https://github.com/RadeonOpenCompute/llvm-project roc-6.4.0 25133 c7fe45cf4b819c5991fe208aaa96edf142730f1d)"
	.section	".note.GNU-stack","",@progbits
	.addrsig
	.addrsig_sym __hip_cuid_59ac2b887ebef67e
	.amdgpu_metadata
---
amdhsa.kernels:
  - .args:
      - .actual_access:  read_only
        .address_space:  global
        .offset:         0
        .size:           8
        .value_kind:     global_buffer
      - .actual_access:  read_only
        .address_space:  global
        .offset:         8
        .size:           8
        .value_kind:     global_buffer
      - .actual_access:  read_only
        .address_space:  global
        .offset:         16
        .size:           8
        .value_kind:     global_buffer
      - .actual_access:  read_only
        .address_space:  global
        .offset:         24
        .size:           8
        .value_kind:     global_buffer
      - .actual_access:  read_only
        .address_space:  global
        .offset:         32
        .size:           8
        .value_kind:     global_buffer
      - .offset:         40
        .size:           8
        .value_kind:     by_value
      - .address_space:  global
        .offset:         48
        .size:           8
        .value_kind:     global_buffer
      - .address_space:  global
        .offset:         56
        .size:           8
        .value_kind:     global_buffer
      - .address_space:  global
        .offset:         64
        .size:           8
        .value_kind:     global_buffer
      - .address_space:  global
        .offset:         72
        .size:           8
        .value_kind:     global_buffer
      - .offset:         80
        .size:           4
        .value_kind:     by_value
      - .address_space:  global
        .offset:         88
        .size:           8
        .value_kind:     global_buffer
      - .address_space:  global
        .offset:         96
        .size:           8
        .value_kind:     global_buffer
    .group_segment_fixed_size: 11700
    .kernarg_segment_align: 8
    .kernarg_segment_size: 104
    .language:       OpenCL C
    .language_version:
      - 2
      - 0
    .max_flat_workgroup_size: 117
    .name:           bluestein_single_back_len975_dim1_half_op_CI_CI
    .private_segment_fixed_size: 0
    .sgpr_count:     40
    .sgpr_spill_count: 0
    .symbol:         bluestein_single_back_len975_dim1_half_op_CI_CI.kd
    .uniform_work_group_size: 1
    .uses_dynamic_stack: false
    .vgpr_count:     228
    .vgpr_spill_count: 0
    .wavefront_size: 64
amdhsa.target:   amdgcn-amd-amdhsa--gfx906
amdhsa.version:
  - 1
  - 2
...

	.end_amdgpu_metadata
